;; amdgpu-corpus repo=ROCm/rocFFT kind=compiled arch=gfx906 opt=O3
	.text
	.amdgcn_target "amdgcn-amd-amdhsa--gfx906"
	.amdhsa_code_object_version 6
	.protected	bluestein_single_back_len1944_dim1_sp_op_CI_CI ; -- Begin function bluestein_single_back_len1944_dim1_sp_op_CI_CI
	.globl	bluestein_single_back_len1944_dim1_sp_op_CI_CI
	.p2align	8
	.type	bluestein_single_back_len1944_dim1_sp_op_CI_CI,@function
bluestein_single_back_len1944_dim1_sp_op_CI_CI: ; @bluestein_single_back_len1944_dim1_sp_op_CI_CI
; %bb.0:
	s_load_dwordx4 s[8:11], s[4:5], 0x28
	v_mul_u32_u24_e32 v1, 0x10e, v0
	v_add_u32_sdwa v74, s6, v1 dst_sel:DWORD dst_unused:UNUSED_PAD src0_sel:DWORD src1_sel:WORD_1
	v_mov_b32_e32 v75, 0
	s_waitcnt lgkmcnt(0)
	v_cmp_gt_u64_e32 vcc, s[8:9], v[74:75]
	s_and_saveexec_b64 s[0:1], vcc
	s_cbranch_execz .LBB0_47
; %bb.1:
	s_load_dwordx4 s[12:15], s[4:5], 0x18
	s_movk_i32 s6, 0xf3
	v_mul_lo_u16_sdwa v1, v1, s6 dst_sel:DWORD dst_unused:UNUSED_PAD src0_sel:WORD_1 src1_sel:DWORD
	v_sub_u16_e32 v100, v0, v1
	v_lshlrev_b32_e32 v99, 3, v100
	s_waitcnt lgkmcnt(0)
	s_load_dwordx4 s[0:3], s[12:13], 0x0
	s_waitcnt lgkmcnt(0)
	v_mad_u64_u32 v[0:1], s[6:7], s2, v74, 0
	v_mad_u64_u32 v[2:3], s[6:7], s0, v100, 0
	s_load_dwordx2 s[12:13], s[4:5], 0x0
	s_mul_i32 s6, s1, 0x288
	v_mad_u64_u32 v[4:5], s[2:3], s3, v74, v[1:2]
	s_mul_hi_u32 s7, s0, 0x288
	s_add_i32 s7, s7, s6
	v_mad_u64_u32 v[5:6], s[2:3], s1, v100, v[3:4]
	v_mov_b32_e32 v1, v4
	v_lshlrev_b64 v[0:1], 3, v[0:1]
	v_mov_b32_e32 v6, s11
	v_mov_b32_e32 v3, v5
	v_add_co_u32_e32 v4, vcc, s10, v0
	v_addc_co_u32_e32 v5, vcc, v6, v1, vcc
	v_lshlrev_b64 v[0:1], 3, v[2:3]
	s_waitcnt lgkmcnt(0)
	v_mov_b32_e32 v2, s13
	v_add_co_u32_e32 v0, vcc, v4, v0
	v_add_co_u32_e64 v72, s[2:3], s12, v99
	s_mul_i32 s6, s0, 0x288
	v_addc_co_u32_e32 v1, vcc, v5, v1, vcc
	v_addc_co_u32_e64 v73, vcc, 0, v2, s[2:3]
	s_lshl_b64 s[16:17], s[6:7], 3
	v_mov_b32_e32 v18, s17
	v_add_co_u32_e32 v2, vcc, s16, v0
	v_addc_co_u32_e32 v3, vcc, v1, v18, vcc
	s_movk_i32 s6, 0x1000
	v_add_co_u32_e32 v8, vcc, s6, v72
	v_addc_co_u32_e32 v9, vcc, 0, v73, vcc
	global_load_dwordx2 v[85:86], v99, s[12:13]
	global_load_dwordx2 v[4:5], v[0:1], off
	global_load_dwordx2 v[6:7], v[2:3], off
	v_add_co_u32_e32 v2, vcc, s16, v2
	v_addc_co_u32_e32 v3, vcc, v3, v18, vcc
	s_movk_i32 s6, 0x2000
	v_add_co_u32_e32 v0, vcc, s6, v72
	s_mul_hi_u32 s6, s0, 0xfffffbe3
	s_mulk_i32 s1, 0xfbe3
	s_sub_i32 s6, s6, s0
	s_add_i32 s1, s6, s1
	s_mulk_i32 s0, 0xfbe3
	v_addc_co_u32_e32 v1, vcc, 0, v73, vcc
	s_lshl_b64 s[18:19], s[0:1], 3
	global_load_dwordx2 v[10:11], v[2:3], off
	v_mov_b32_e32 v12, s19
	v_add_co_u32_e32 v2, vcc, s18, v2
	global_load_dwordx2 v[83:84], v[8:9], off offset:1088
	v_addc_co_u32_e32 v3, vcc, v3, v12, vcc
	v_add_co_u32_e32 v12, vcc, s16, v2
	global_load_dwordx2 v[79:80], v[0:1], off offset:2176
	global_load_dwordx2 v[81:82], v99, s[12:13] offset:1944
	v_addc_co_u32_e32 v13, vcc, v3, v18, vcc
	global_load_dwordx2 v[14:15], v[2:3], off
	global_load_dwordx2 v[16:17], v[12:13], off
	global_load_dwordx2 v[75:76], v[8:9], off offset:3032
	v_add_co_u32_e32 v2, vcc, s16, v12
	v_addc_co_u32_e32 v3, vcc, v13, v18, vcc
	s_movk_i32 s0, 0x3000
	v_add_co_u32_e32 v8, vcc, s0, v72
	v_addc_co_u32_e32 v9, vcc, 0, v73, vcc
	global_load_dwordx2 v[77:78], v[8:9], off offset:24
	global_load_dwordx2 v[12:13], v[2:3], off
	s_load_dwordx2 s[6:7], s[4:5], 0x38
	s_load_dwordx4 s[8:11], s[14:15], 0x0
	s_movk_i32 s0, 0xa2
	v_cmp_gt_u16_e64 s[0:1], s0, v100
	s_waitcnt vmcnt(10)
	v_mul_f32_e32 v8, v5, v86
	v_mul_f32_e32 v9, v4, v86
	v_fmac_f32_e32 v8, v4, v85
	v_fma_f32 v9, v5, v85, -v9
	s_waitcnt vmcnt(7)
	v_mul_f32_e32 v4, v7, v84
	v_mul_f32_e32 v5, v6, v84
	v_fmac_f32_e32 v4, v6, v83
	v_fma_f32 v5, v7, v83, -v5
	ds_write_b64 v99, v[4:5] offset:5184
	s_waitcnt vmcnt(6)
	v_mul_f32_e32 v4, v10, v80
	v_mul_f32_e32 v6, v11, v80
	v_fma_f32 v7, v11, v79, -v4
	s_waitcnt vmcnt(4)
	v_mul_f32_e32 v4, v15, v82
	v_mul_f32_e32 v5, v14, v82
	v_fmac_f32_e32 v6, v10, v79
	v_fmac_f32_e32 v4, v14, v81
	v_fma_f32 v5, v15, v81, -v5
	ds_write_b64 v99, v[6:7] offset:10368
	ds_write2_b64 v99, v[8:9], v[4:5] offset1:243
	s_waitcnt vmcnt(2)
	v_mul_f32_e32 v4, v17, v76
	v_mul_f32_e32 v5, v16, v76
	v_fmac_f32_e32 v4, v16, v75
	v_fma_f32 v5, v17, v75, -v5
	ds_write_b64 v99, v[4:5] offset:7128
	s_waitcnt vmcnt(0)
	v_mul_f32_e32 v4, v13, v78
	v_mul_f32_e32 v5, v12, v78
	v_fmac_f32_e32 v4, v12, v77
	v_fma_f32 v5, v13, v77, -v5
	ds_write_b64 v99, v[4:5] offset:12312
	s_and_saveexec_b64 s[14:15], s[0:1]
	s_cbranch_execz .LBB0_3
; %bb.2:
	v_mov_b32_e32 v4, s19
	v_add_co_u32_e32 v2, vcc, s18, v2
	v_addc_co_u32_e32 v3, vcc, v3, v4, vcc
	global_load_dwordx2 v[4:5], v[2:3], off
	v_mov_b32_e32 v12, s17
	v_add_co_u32_e32 v2, vcc, s16, v2
	v_addc_co_u32_e32 v3, vcc, v3, v12, vcc
	global_load_dwordx2 v[6:7], v[2:3], off
	global_load_dwordx2 v[8:9], v[72:73], off offset:3888
	global_load_dwordx2 v[10:11], v[0:1], off offset:880
	v_add_co_u32_e32 v0, vcc, s16, v2
	v_addc_co_u32_e32 v1, vcc, v3, v12, vcc
	v_add_co_u32_e32 v2, vcc, 0x3000, v72
	v_addc_co_u32_e32 v3, vcc, 0, v73, vcc
	global_load_dwordx2 v[12:13], v[2:3], off offset:1968
	global_load_dwordx2 v[14:15], v[0:1], off
	s_waitcnt vmcnt(3)
	v_mul_f32_e32 v0, v5, v9
	v_mul_f32_e32 v1, v4, v9
	v_fmac_f32_e32 v0, v4, v8
	v_fma_f32 v1, v5, v8, -v1
	s_waitcnt vmcnt(2)
	v_mul_f32_e32 v2, v7, v11
	v_mul_f32_e32 v3, v6, v11
	ds_write_b64 v99, v[0:1] offset:3888
	v_fmac_f32_e32 v2, v6, v10
	v_fma_f32 v3, v7, v10, -v3
	ds_write_b64 v99, v[2:3] offset:9072
	s_waitcnt vmcnt(0)
	v_mul_f32_e32 v0, v15, v13
	v_mul_f32_e32 v1, v14, v13
	v_fmac_f32_e32 v0, v14, v12
	v_fma_f32 v1, v15, v12, -v1
	ds_write_b64 v99, v[0:1] offset:14256
.LBB0_3:
	s_or_b64 exec, exec, s[14:15]
	v_add_u32_e32 v4, 0x1400, v99
	v_add_u32_e32 v8, 0x2880, v99
	s_waitcnt lgkmcnt(0)
	s_barrier
	ds_read2_b64 v[0:3], v99 offset1:243
	ds_read2_b64 v[4:7], v4 offset0:8 offset1:251
	ds_read2_b64 v[8:11], v8 offset1:243
                                        ; implicit-def: $vgpr12
                                        ; implicit-def: $vgpr14
                                        ; implicit-def: $vgpr20
	s_and_saveexec_b64 s[14:15], s[0:1]
	s_cbranch_execz .LBB0_5
; %bb.4:
	ds_read_b64 v[20:21], v99 offset:3888
	ds_read_b64 v[12:13], v99 offset:9072
	;; [unrolled: 1-line block ×3, first 2 shown]
.LBB0_5:
	s_or_b64 exec, exec, s[14:15]
	s_waitcnt lgkmcnt(0)
	v_add_f32_e32 v17, v4, v8
	v_add_f32_e32 v16, v0, v4
	v_fma_f32 v0, -0.5, v17, v0
	v_sub_f32_e32 v17, v5, v9
	v_mov_b32_e32 v18, v0
	v_fmac_f32_e32 v18, 0x3f5db3d7, v17
	v_fmac_f32_e32 v0, 0xbf5db3d7, v17
	v_add_f32_e32 v17, v1, v5
	v_add_f32_e32 v5, v5, v9
	v_fma_f32 v1, -0.5, v5, v1
	v_sub_f32_e32 v4, v4, v8
	v_mov_b32_e32 v19, v1
	v_add_f32_e32 v5, v6, v10
	v_fmac_f32_e32 v19, 0xbf5db3d7, v4
	v_fmac_f32_e32 v1, 0x3f5db3d7, v4
	v_add_f32_e32 v4, v2, v6
	v_fma_f32 v2, -0.5, v5, v2
	v_add_f32_e32 v16, v16, v8
	v_sub_f32_e32 v5, v7, v11
	v_mov_b32_e32 v8, v2
	v_fmac_f32_e32 v8, 0x3f5db3d7, v5
	v_fmac_f32_e32 v2, 0xbf5db3d7, v5
	v_add_f32_e32 v5, v3, v7
	v_add_f32_e32 v7, v7, v11
	v_fmac_f32_e32 v3, -0.5, v7
	v_add_f32_e32 v17, v17, v9
	v_sub_f32_e32 v6, v6, v10
	v_mov_b32_e32 v9, v3
	v_fmac_f32_e32 v9, 0xbf5db3d7, v6
	v_fmac_f32_e32 v3, 0x3f5db3d7, v6
	v_add_f32_e32 v6, v12, v20
	v_add_f32_e32 v32, v14, v6
	;; [unrolled: 1-line block ×3, first 2 shown]
	v_fmac_f32_e32 v20, -0.5, v6
	v_sub_f32_e32 v6, v13, v15
	v_mov_b32_e32 v22, v20
	v_fmac_f32_e32 v22, 0x3f5db3d7, v6
	v_fmac_f32_e32 v20, 0xbf5db3d7, v6
	v_add_f32_e32 v6, v13, v21
	v_add_f32_e32 v33, v15, v6
	;; [unrolled: 1-line block ×3, first 2 shown]
	v_fmac_f32_e32 v21, -0.5, v6
	s_load_dwordx2 s[4:5], s[4:5], 0x8
	v_sub_f32_e32 v6, v12, v14
	v_mov_b32_e32 v23, v21
	v_fmac_f32_e32 v23, 0xbf5db3d7, v6
	v_fmac_f32_e32 v21, 0x3f5db3d7, v6
	v_mul_lo_u16_e32 v6, 3, v100
	v_add_co_u32_e32 v56, vcc, 0xf3, v100
	v_lshlrev_b32_e32 v101, 3, v6
	v_add_co_u32_e32 v95, vcc, 0x1e6, v100
	s_waitcnt lgkmcnt(0)
	s_barrier
	ds_write2_b64 v101, v[16:17], v[18:19] offset1:1
	ds_write_b64 v101, v[0:1] offset:16
	v_mul_u32_u24_e32 v0, 3, v56
	v_addc_co_u32_e64 v96, s[14:15], 0, 0, vcc
	v_add_f32_e32 v4, v4, v10
	v_add_f32_e32 v5, v5, v11
	v_lshlrev_b32_e32 v102, 3, v0
	v_mul_u32_u24_e32 v103, 3, v95
	ds_write2_b64 v102, v[4:5], v[8:9] offset1:1
	ds_write_b64 v102, v[2:3] offset:16
	s_and_saveexec_b64 s[14:15], s[0:1]
	s_cbranch_execz .LBB0_7
; %bb.6:
	v_lshlrev_b32_e32 v0, 3, v103
	ds_write2_b64 v0, v[32:33], v[22:23] offset1:1
	ds_write_b64 v0, v[20:21] offset:16
.LBB0_7:
	s_or_b64 exec, exec, s[14:15]
	v_add_u32_e32 v0, 0x1400, v99
	s_waitcnt lgkmcnt(0)
	s_barrier
	ds_read2_b64 v[6:9], v0 offset0:8 offset1:251
	v_add_u32_e32 v0, 0x2880, v99
	ds_read2_b64 v[12:15], v99 offset1:243
	ds_read2_b64 v[16:19], v0 offset1:243
	s_and_saveexec_b64 s[14:15], s[0:1]
	s_cbranch_execz .LBB0_9
; %bb.8:
	ds_read_b64 v[32:33], v99 offset:3888
	ds_read_b64 v[22:23], v99 offset:9072
	;; [unrolled: 1-line block ×3, first 2 shown]
.LBB0_9:
	s_or_b64 exec, exec, s[14:15]
	s_movk_i32 s12, 0xab
	v_mul_lo_u16_sdwa v0, v100, s12 dst_sel:DWORD dst_unused:UNUSED_PAD src0_sel:BYTE_0 src1_sel:DWORD
	v_lshrrev_b16_e32 v24, 9, v0
	v_mul_lo_u16_e32 v0, 3, v24
	v_sub_u16_e32 v0, v100, v0
	v_and_b32_e32 v25, 0xff, v0
	v_lshlrev_b32_e32 v0, 4, v25
	global_load_dwordx4 v[0:3], v0, s[4:5]
	s_mov_b32 s12, 0xaaab
	v_mul_u32_u24_e32 v24, 9, v24
	v_add_lshl_u32 v104, v24, v25, 3
	s_waitcnt vmcnt(0) lgkmcnt(2)
	v_mul_f32_e32 v4, v7, v1
	v_fma_f32 v26, v6, v0, -v4
	s_waitcnt lgkmcnt(0)
	v_mul_f32_e32 v4, v17, v3
	v_fma_f32 v28, v16, v2, -v4
	v_mul_u32_u24_sdwa v4, v56, s12 dst_sel:DWORD dst_unused:UNUSED_PAD src0_sel:WORD_0 src1_sel:DWORD
	v_lshrrev_b32_e32 v30, 17, v4
	v_mul_lo_u16_e32 v4, 3, v30
	v_sub_u16_e32 v31, v56, v4
	v_lshlrev_b16_e32 v4, 1, v31
	v_mul_f32_e32 v27, v6, v1
	v_lshlrev_b32_e32 v4, 3, v4
	v_fmac_f32_e32 v27, v7, v0
	global_load_dwordx4 v[4:7], v4, s[4:5]
	v_mul_f32_e32 v29, v16, v3
	v_fmac_f32_e32 v29, v17, v2
	v_add_f32_e32 v17, v26, v28
	s_waitcnt vmcnt(0)
	v_mul_f32_e32 v10, v9, v5
	v_fma_f32 v34, v8, v4, -v10
	v_mul_f32_e32 v35, v8, v5
	v_mul_f32_e32 v8, v19, v7
	v_fma_f32 v36, v18, v6, -v8
	v_mul_u32_u24_sdwa v8, v95, s12 dst_sel:DWORD dst_unused:UNUSED_PAD src0_sel:WORD_0 src1_sel:DWORD
	v_lshrrev_b32_e32 v38, 17, v8
	v_mul_lo_u16_e32 v8, 3, v38
	v_sub_u16_e32 v39, v95, v8
	v_lshlrev_b16_e32 v8, 1, v39
	v_lshlrev_b32_e32 v8, 3, v8
	v_fmac_f32_e32 v35, v9, v4
	global_load_dwordx4 v[8:11], v8, s[4:5]
	v_mul_f32_e32 v37, v18, v7
	v_fmac_f32_e32 v37, v19, v6
	v_add_f32_e32 v19, v27, v29
	s_waitcnt vmcnt(0)
	s_barrier
	v_mad_legacy_u16 v106, v38, 9, v39
	v_mul_f32_e32 v16, v23, v9
	v_fma_f32 v40, v22, v8, -v16
	v_mul_f32_e32 v16, v21, v11
	v_fma_f32 v42, v20, v10, -v16
	v_add_f32_e32 v16, v12, v26
	v_fma_f32 v12, -0.5, v17, v12
	v_sub_f32_e32 v17, v27, v29
	v_mov_b32_e32 v18, v12
	v_mul_f32_e32 v43, v20, v11
	v_fmac_f32_e32 v18, 0x3f5db3d7, v17
	v_fmac_f32_e32 v12, 0xbf5db3d7, v17
	v_add_f32_e32 v17, v13, v27
	v_fma_f32 v13, -0.5, v19, v13
	v_fmac_f32_e32 v43, v21, v10
	v_sub_f32_e32 v20, v26, v28
	v_mov_b32_e32 v19, v13
	v_add_f32_e32 v21, v34, v36
	v_mul_f32_e32 v41, v22, v9
	v_fmac_f32_e32 v19, 0xbf5db3d7, v20
	v_fmac_f32_e32 v13, 0x3f5db3d7, v20
	v_add_f32_e32 v20, v14, v34
	v_fma_f32 v14, -0.5, v21, v14
	v_fmac_f32_e32 v41, v23, v8
	v_sub_f32_e32 v21, v35, v37
	v_mov_b32_e32 v22, v14
	v_add_f32_e32 v23, v35, v37
	v_fmac_f32_e32 v22, 0x3f5db3d7, v21
	v_fmac_f32_e32 v14, 0xbf5db3d7, v21
	v_add_f32_e32 v21, v15, v35
	v_fmac_f32_e32 v15, -0.5, v23
	v_sub_f32_e32 v26, v34, v36
	v_mov_b32_e32 v23, v15
	v_fmac_f32_e32 v23, 0xbf5db3d7, v26
	v_fmac_f32_e32 v15, 0x3f5db3d7, v26
	v_add_f32_e32 v26, v32, v40
	v_add_f32_e32 v48, v26, v42
	;; [unrolled: 1-line block ×3, first 2 shown]
	v_fmac_f32_e32 v32, -0.5, v26
	v_sub_f32_e32 v26, v41, v43
	v_mov_b32_e32 v34, v32
	v_fmac_f32_e32 v34, 0x3f5db3d7, v26
	v_fmac_f32_e32 v32, 0xbf5db3d7, v26
	v_add_f32_e32 v26, v33, v41
	v_add_f32_e32 v49, v26, v43
	;; [unrolled: 1-line block ×5, first 2 shown]
	v_fmac_f32_e32 v33, -0.5, v26
	v_sub_f32_e32 v26, v40, v42
	v_mov_b32_e32 v35, v33
	ds_write2_b64 v104, v[16:17], v[18:19] offset1:3
	ds_write_b64 v104, v[12:13] offset:48
	v_mad_legacy_u16 v12, v30, 9, v31
	v_add_f32_e32 v20, v20, v36
	v_add_f32_e32 v21, v21, v37
	v_fmac_f32_e32 v35, 0xbf5db3d7, v26
	v_fmac_f32_e32 v33, 0x3f5db3d7, v26
	v_lshlrev_b32_e32 v105, 3, v12
	ds_write2_b64 v105, v[20:21], v[22:23] offset1:3
	ds_write_b64 v105, v[14:15] offset:48
	s_and_saveexec_b64 s[14:15], s[0:1]
	s_cbranch_execz .LBB0_11
; %bb.10:
	v_lshlrev_b32_e32 v12, 3, v106
	ds_write2_b64 v12, v[48:49], v[34:35] offset1:3
	ds_write_b64 v12, v[32:33] offset:48
.LBB0_11:
	s_or_b64 exec, exec, s[14:15]
	v_add_u32_e32 v12, 0x1400, v99
	s_waitcnt lgkmcnt(0)
	s_barrier
	ds_read2_b64 v[18:21], v12 offset0:8 offset1:251
	v_add_u32_e32 v12, 0x2880, v99
	ds_read2_b64 v[24:27], v99 offset1:243
	ds_read2_b64 v[28:31], v12 offset1:243
	s_and_saveexec_b64 s[14:15], s[0:1]
	s_cbranch_execz .LBB0_13
; %bb.12:
	ds_read_b64 v[48:49], v99 offset:3888
	ds_read_b64 v[34:35], v99 offset:9072
	;; [unrolled: 1-line block ×3, first 2 shown]
.LBB0_13:
	s_or_b64 exec, exec, s[14:15]
	v_mov_b32_e32 v12, 57
	v_mul_lo_u16_sdwa v12, v100, v12 dst_sel:DWORD dst_unused:UNUSED_PAD src0_sel:BYTE_0 src1_sel:DWORD
	v_lshrrev_b16_e32 v36, 9, v12
	v_mul_lo_u16_e32 v12, 9, v36
	v_sub_u16_e32 v12, v100, v12
	v_and_b32_e32 v37, 0xff, v12
	v_lshlrev_b32_e32 v12, 4, v37
	global_load_dwordx4 v[12:15], v12, s[4:5] offset:48
	s_mov_b32 s12, 0xe38f
	v_mov_b32_e32 v22, s5
	v_mul_u32_u24_e32 v36, 27, v36
	v_add_lshl_u32 v109, v36, v37, 3
	s_waitcnt vmcnt(0) lgkmcnt(2)
	v_mul_f32_e32 v16, v19, v13
	v_fma_f32 v38, v18, v12, -v16
	s_waitcnt lgkmcnt(0)
	v_mul_f32_e32 v16, v29, v15
	v_fma_f32 v40, v28, v14, -v16
	v_mul_u32_u24_sdwa v16, v56, s12 dst_sel:DWORD dst_unused:UNUSED_PAD src0_sel:WORD_0 src1_sel:DWORD
	v_lshrrev_b32_e32 v42, 19, v16
	v_mul_lo_u16_e32 v16, 9, v42
	v_sub_u16_e32 v43, v56, v16
	v_lshlrev_b16_e32 v16, 4, v43
	v_add_co_u32_e32 v16, vcc, s4, v16
	v_mul_f32_e32 v39, v18, v13
	v_addc_co_u32_e32 v17, vcc, 0, v22, vcc
	v_fmac_f32_e32 v39, v19, v12
	global_load_dwordx4 v[16:19], v[16:17], off offset:48
	v_mul_f32_e32 v41, v28, v15
	v_fmac_f32_e32 v41, v29, v14
	v_add_f32_e32 v29, v38, v40
	s_waitcnt vmcnt(0)
	v_mul_f32_e32 v23, v21, v17
	v_fma_f32 v44, v20, v16, -v23
	v_mul_f32_e32 v45, v20, v17
	v_mul_f32_e32 v20, v31, v19
	v_fma_f32 v46, v30, v18, -v20
	v_mul_u32_u24_sdwa v20, v95, s12 dst_sel:DWORD dst_unused:UNUSED_PAD src0_sel:WORD_0 src1_sel:DWORD
	v_lshrrev_b32_e32 v54, 19, v20
	v_mul_lo_u16_e32 v20, 9, v54
	v_sub_u16_e32 v55, v95, v20
	v_lshlrev_b16_e32 v20, 4, v55
	v_add_co_u32_e32 v20, vcc, s4, v20
	v_fmac_f32_e32 v45, v21, v16
	v_addc_co_u32_e32 v21, vcc, 0, v22, vcc
	global_load_dwordx4 v[20:23], v[20:21], off offset:48
	v_mul_f32_e32 v47, v30, v19
	v_fmac_f32_e32 v47, v31, v18
	v_add_f32_e32 v31, v39, v41
	s_waitcnt vmcnt(0)
	s_barrier
	v_mad_legacy_u16 v111, v54, 27, v55
	v_mul_f32_e32 v28, v35, v21
	v_fma_f32 v53, v34, v20, -v28
	v_mul_f32_e32 v28, v33, v23
	v_fma_f32 v58, v32, v22, -v28
	v_add_f32_e32 v28, v24, v38
	v_fma_f32 v24, -0.5, v29, v24
	v_sub_f32_e32 v29, v39, v41
	v_mov_b32_e32 v30, v24
	v_mul_f32_e32 v59, v32, v23
	v_fmac_f32_e32 v30, 0x3f5db3d7, v29
	v_fmac_f32_e32 v24, 0xbf5db3d7, v29
	v_add_f32_e32 v29, v25, v39
	v_fma_f32 v25, -0.5, v31, v25
	v_fmac_f32_e32 v59, v33, v22
	v_sub_f32_e32 v32, v38, v40
	v_mov_b32_e32 v31, v25
	v_add_f32_e32 v33, v44, v46
	v_mul_f32_e32 v57, v34, v21
	v_fmac_f32_e32 v31, 0xbf5db3d7, v32
	v_fmac_f32_e32 v25, 0x3f5db3d7, v32
	v_add_f32_e32 v32, v26, v44
	v_fma_f32 v26, -0.5, v33, v26
	v_fmac_f32_e32 v57, v35, v20
	v_sub_f32_e32 v33, v45, v47
	v_mov_b32_e32 v34, v26
	v_add_f32_e32 v35, v45, v47
	v_fmac_f32_e32 v34, 0x3f5db3d7, v33
	v_fmac_f32_e32 v26, 0xbf5db3d7, v33
	v_add_f32_e32 v33, v27, v45
	v_fmac_f32_e32 v27, -0.5, v35
	v_sub_f32_e32 v38, v44, v46
	v_mov_b32_e32 v35, v27
	v_fmac_f32_e32 v35, 0xbf5db3d7, v38
	v_fmac_f32_e32 v27, 0x3f5db3d7, v38
	v_add_f32_e32 v38, v48, v53
	v_add_f32_e32 v50, v38, v58
	;; [unrolled: 1-line block ×3, first 2 shown]
	v_fmac_f32_e32 v48, -0.5, v38
	v_sub_f32_e32 v38, v57, v59
	v_mov_b32_e32 v52, v48
	v_fmac_f32_e32 v52, 0x3f5db3d7, v38
	v_fmac_f32_e32 v48, 0xbf5db3d7, v38
	v_add_f32_e32 v38, v49, v57
	v_add_f32_e32 v51, v38, v59
	;; [unrolled: 1-line block ×5, first 2 shown]
	v_fmac_f32_e32 v49, -0.5, v38
	v_sub_f32_e32 v38, v53, v58
	v_mov_b32_e32 v53, v49
	ds_write2_b64 v109, v[28:29], v[30:31] offset1:9
	ds_write_b64 v109, v[24:25] offset:144
	v_mad_legacy_u16 v24, v42, 27, v43
	v_add_f32_e32 v32, v32, v46
	v_add_f32_e32 v33, v33, v47
	v_fmac_f32_e32 v53, 0xbf5db3d7, v38
	v_fmac_f32_e32 v49, 0x3f5db3d7, v38
	v_lshlrev_b32_e32 v110, 3, v24
	ds_write2_b64 v110, v[32:33], v[34:35] offset1:9
	ds_write_b64 v110, v[26:27] offset:144
	s_and_saveexec_b64 s[14:15], s[0:1]
	s_cbranch_execz .LBB0_15
; %bb.14:
	v_lshlrev_b32_e32 v24, 3, v111
	ds_write2_b64 v24, v[50:51], v[52:53] offset1:9
	ds_write_b64 v24, v[48:49] offset:144
.LBB0_15:
	s_or_b64 exec, exec, s[14:15]
	v_add_u32_e32 v24, 0x1400, v99
	s_waitcnt lgkmcnt(0)
	s_barrier
	ds_read2_b64 v[40:43], v24 offset0:8 offset1:251
	v_add_u32_e32 v24, 0x2880, v99
	ds_read2_b64 v[36:39], v99 offset1:243
	ds_read2_b64 v[44:47], v24 offset1:243
	s_and_saveexec_b64 s[14:15], s[0:1]
	s_cbranch_execz .LBB0_17
; %bb.16:
	ds_read_b64 v[50:51], v99 offset:3888
	ds_read_b64 v[52:53], v99 offset:9072
	ds_read_b64 v[48:49], v99 offset:14256
.LBB0_17:
	s_or_b64 exec, exec, s[14:15]
	s_movk_i32 s12, 0x2f69
	v_mul_u32_u24_sdwa v28, v56, s12 dst_sel:DWORD dst_unused:UNUSED_PAD src0_sel:WORD_0 src1_sel:DWORD
	v_sub_u16_sdwa v29, v56, v28 dst_sel:DWORD dst_unused:UNUSED_PAD src0_sel:DWORD src1_sel:WORD_1
	v_lshrrev_b16_e32 v29, 1, v29
	v_mul_u32_u24_sdwa v32, v95, s12 dst_sel:DWORD dst_unused:UNUSED_PAD src0_sel:WORD_0 src1_sel:DWORD
	v_mov_b32_e32 v24, 19
	v_add_u16_sdwa v28, v29, v28 dst_sel:DWORD dst_unused:UNUSED_PAD src0_sel:DWORD src1_sel:WORD_1
	v_sub_u16_sdwa v34, v95, v32 dst_sel:DWORD dst_unused:UNUSED_PAD src0_sel:DWORD src1_sel:WORD_1
	v_mul_lo_u16_sdwa v24, v100, v24 dst_sel:DWORD dst_unused:UNUSED_PAD src0_sel:BYTE_0 src1_sel:DWORD
	v_lshrrev_b16_e32 v61, 4, v28
	v_lshrrev_b16_e32 v34, 1, v34
	;; [unrolled: 1-line block ×3, first 2 shown]
	v_mul_lo_u16_e32 v28, 27, v61
	v_add_u16_sdwa v32, v34, v32 dst_sel:DWORD dst_unused:UNUSED_PAD src0_sel:DWORD src1_sel:WORD_1
	v_mul_lo_u16_e32 v24, 27, v59
	v_sub_u16_e32 v62, v56, v28
	v_lshrrev_b16_e32 v107, 4, v32
	v_sub_u16_e32 v24, v100, v24
	v_lshlrev_b16_e32 v28, 4, v62
	v_mul_lo_u16_e32 v32, 27, v107
	v_and_b32_e32 v60, 0xff, v24
	v_mov_b32_e32 v33, s5
	v_add_co_u32_e32 v28, vcc, s4, v28
	v_sub_u16_e32 v108, v95, v32
	v_lshlrev_b32_e32 v24, 4, v60
	v_addc_co_u32_e32 v29, vcc, 0, v33, vcc
	v_lshlrev_b16_e32 v32, 4, v108
	global_load_dwordx4 v[24:27], v24, s[4:5] offset:192
	v_add_co_u32_e32 v32, vcc, s4, v32
	global_load_dwordx4 v[28:31], v[28:29], off offset:192
	v_addc_co_u32_e32 v33, vcc, 0, v33, vcc
	global_load_dwordx4 v[32:35], v[32:33], off offset:192
	v_mul_u32_u24_e32 v59, 0x51, v59
	s_movk_i32 s12, 0x51
	v_add_lshl_u32 v112, v59, v60, 3
	s_waitcnt vmcnt(0) lgkmcnt(0)
	s_barrier
	v_mul_f32_e32 v54, v41, v25
	v_mul_f32_e32 v55, v40, v25
	;; [unrolled: 1-line block ×4, first 2 shown]
	v_fma_f32 v40, v40, v24, -v54
	v_fmac_f32_e32 v55, v41, v24
	v_fma_f32 v44, v44, v26, -v57
	v_fmac_f32_e32 v58, v45, v26
	v_mul_f32_e32 v67, v43, v29
	v_add_f32_e32 v45, v36, v40
	v_add_f32_e32 v57, v40, v44
	;; [unrolled: 1-line block ×4, first 2 shown]
	v_sub_f32_e32 v66, v40, v44
	v_mul_f32_e32 v68, v42, v29
	v_mul_f32_e32 v69, v47, v31
	;; [unrolled: 1-line block ×7, first 2 shown]
	v_fma_f32 v42, v42, v28, -v67
	v_sub_f32_e32 v63, v55, v58
	v_add_f32_e32 v54, v45, v44
	v_fma_f32 v57, -0.5, v57, v36
	v_add_f32_e32 v55, v64, v58
	v_fma_f32 v58, -0.5, v65, v37
	v_fmac_f32_e32 v68, v43, v28
	v_fma_f32 v44, v46, v30, -v69
	v_fmac_f32_e32 v70, v47, v30
	v_fma_f32 v36, v52, v32, -v71
	;; [unrolled: 2-line block ×3, first 2 shown]
	v_fmac_f32_e32 v41, v49, v34
	v_add_f32_e32 v45, v38, v42
	v_mov_b32_e32 v46, v57
	v_mov_b32_e32 v47, v58
	v_add_f32_e32 v49, v42, v44
	v_add_f32_e32 v53, v68, v70
	v_sub_f32_e32 v64, v42, v44
	v_add_f32_e32 v42, v36, v37
	v_add_f32_e32 v48, v45, v44
	;; [unrolled: 1-line block ×3, first 2 shown]
	v_fmac_f32_e32 v46, 0x3f5db3d7, v63
	v_fmac_f32_e32 v47, 0xbf5db3d7, v66
	v_add_f32_e32 v52, v39, v68
	v_fma_f32 v38, -0.5, v49, v38
	v_fmac_f32_e32 v39, -0.5, v53
	v_fma_f32 v42, -0.5, v42, v50
	v_fma_f32 v44, -0.5, v44, v51
	v_fmac_f32_e32 v57, 0xbf5db3d7, v63
	v_fmac_f32_e32 v58, 0x3f5db3d7, v66
	v_sub_f32_e32 v63, v68, v70
	v_sub_f32_e32 v43, v40, v41
	v_add_f32_e32 v49, v52, v70
	v_mov_b32_e32 v52, v38
	v_mov_b32_e32 v53, v39
	v_mov_b32_e32 v91, v42
	v_sub_f32_e32 v45, v36, v37
	v_mov_b32_e32 v92, v44
	ds_write2_b64 v112, v[54:55], v[46:47] offset1:27
	ds_write_b64 v112, v[57:58] offset:432
	v_mad_legacy_u16 v46, v61, s12, v62
	v_fmac_f32_e32 v52, 0x3f5db3d7, v63
	v_fmac_f32_e32 v53, 0xbf5db3d7, v64
	;; [unrolled: 1-line block ×4, first 2 shown]
	v_lshlrev_b32_e32 v113, 3, v46
	v_fmac_f32_e32 v38, 0xbf5db3d7, v63
	v_fmac_f32_e32 v39, 0x3f5db3d7, v64
	ds_write2_b64 v113, v[48:49], v[52:53] offset1:27
	ds_write_b64 v113, v[38:39] offset:432
	s_and_saveexec_b64 s[14:15], s[0:1]
	s_cbranch_execz .LBB0_19
; %bb.18:
	v_add_f32_e32 v36, v50, v36
	v_mul_f32_e32 v39, 0x3f5db3d7, v43
	v_mul_f32_e32 v43, 0x3f5db3d7, v45
	v_add_f32_e32 v38, v51, v40
	v_add_f32_e32 v37, v36, v37
	v_mad_legacy_u16 v36, v107, s12, v108
	v_add_f32_e32 v38, v38, v41
	v_sub_f32_e32 v40, v44, v43
	v_add_f32_e32 v39, v39, v42
	v_lshlrev_b32_e32 v36, 3, v36
	ds_write2_b64 v36, v[37:38], v[39:40] offset1:27
	ds_write_b64 v36, v[91:92] offset:432
.LBB0_19:
	s_or_b64 exec, exec, s[14:15]
	s_movk_i32 s12, 0xcb
	v_mul_lo_u16_sdwa v36, v100, s12 dst_sel:DWORD dst_unused:UNUSED_PAD src0_sel:BYTE_0 src1_sel:DWORD
	v_lshrrev_b16_e32 v65, 14, v36
	v_mul_lo_u16_e32 v36, 0x51, v65
	v_sub_u16_e32 v36, v100, v36
	v_and_b32_e32 v66, 0xff, v36
	v_mad_u64_u32 v[48:49], s[14:15], v66, 56, s[4:5]
	s_waitcnt lgkmcnt(0)
	s_barrier
	global_load_dwordx4 v[44:47], v[48:49], off offset:624
	global_load_dwordx4 v[40:43], v[48:49], off offset:640
	;; [unrolled: 1-line block ×3, first 2 shown]
	global_load_dwordx2 v[87:88], v[48:49], off offset:672
	v_add_u32_e32 v52, 0xf00, v99
	v_add_u32_e32 v57, 0x1e00, v99
	;; [unrolled: 1-line block ×3, first 2 shown]
	ds_read2_b64 v[48:51], v99 offset1:243
	ds_read2_b64 v[52:55], v52 offset0:6 offset1:249
	ds_read2_b64 v[57:60], v57 offset0:12 offset1:255
	;; [unrolled: 1-line block ×3, first 2 shown]
	s_waitcnt vmcnt(0) lgkmcnt(0)
	s_barrier
	v_mul_f32_e32 v68, v50, v45
	v_mul_f32_e32 v69, v53, v47
	;; [unrolled: 1-line block ×14, first 2 shown]
	v_fmac_f32_e32 v68, v51, v44
	v_fma_f32 v51, v52, v46, -v69
	v_fmac_f32_e32 v70, v53, v46
	v_fmac_f32_e32 v89, v55, v40
	v_fma_f32 v53, v57, v42, -v90
	v_fmac_f32_e32 v93, v58, v42
	v_fma_f32 v55, v61, v38, -v98
	;; [unrolled: 2-line block ×3, first 2 shown]
	v_fma_f32 v52, v54, v40, -v71
	v_fma_f32 v54, v59, v36, -v94
	v_fmac_f32_e32 v97, v60, v36
	v_fma_f32 v57, v63, v87, -v115
	v_fmac_f32_e32 v116, v64, v87
	v_sub_f32_e32 v53, v48, v53
	v_sub_f32_e32 v58, v49, v93
	;; [unrolled: 1-line block ×8, first 2 shown]
	v_fma_f32 v48, v48, 2.0, -v53
	v_fma_f32 v49, v49, 2.0, -v58
	;; [unrolled: 1-line block ×4, first 2 shown]
	v_sub_f32_e32 v59, v53, v59
	v_add_f32_e32 v67, v58, v55
	v_fma_f32 v50, v50, 2.0, -v54
	v_fma_f32 v63, v68, 2.0, -v60
	;; [unrolled: 1-line block ×4, first 2 shown]
	v_sub_f32_e32 v61, v54, v61
	v_add_f32_e32 v68, v60, v57
	v_sub_f32_e32 v55, v48, v51
	v_sub_f32_e32 v57, v49, v62
	v_fma_f32 v62, v53, 2.0, -v59
	v_fma_f32 v58, v58, 2.0, -v67
	v_sub_f32_e32 v51, v50, v52
	v_sub_f32_e32 v52, v63, v64
	v_fma_f32 v64, v54, 2.0, -v61
	v_fma_f32 v60, v60, 2.0, -v68
	;; [unrolled: 1-line block ×4, first 2 shown]
	v_mov_b32_e32 v48, v62
	v_mov_b32_e32 v49, v58
	;; [unrolled: 1-line block ×4, first 2 shown]
	v_fma_f32 v50, v50, 2.0, -v51
	v_fma_f32 v53, v63, 2.0, -v52
	v_fmac_f32_e32 v48, 0xbf3504f3, v64
	v_fmac_f32_e32 v49, 0xbf3504f3, v60
	;; [unrolled: 1-line block ×3, first 2 shown]
	v_sub_f32_e32 v89, v55, v52
	v_add_f32_e32 v90, v57, v51
	v_sub_f32_e32 v50, v54, v50
	v_sub_f32_e32 v51, v69, v53
	v_fmac_f32_e32 v48, 0xbf3504f3, v60
	v_fmac_f32_e32 v49, 0x3f3504f3, v64
	;; [unrolled: 1-line block ×4, first 2 shown]
	v_mul_u32_u24_e32 v61, 0x288, v65
	v_fma_f32 v52, v55, 2.0, -v89
	v_fma_f32 v53, v57, 2.0, -v90
	v_fma_f32 v54, v54, 2.0, -v50
	v_fma_f32 v55, v69, 2.0, -v51
	v_fma_f32 v57, v62, 2.0, -v48
	v_fma_f32 v58, v58, 2.0, -v49
	v_fmac_f32_e32 v93, 0xbf3504f3, v68
	v_add_lshl_u32 v114, v61, v66, 3
	v_fma_f32 v59, v59, 2.0, -v93
	v_fma_f32 v60, v67, 2.0, -v94
	ds_write2_b64 v114, v[54:55], v[57:58] offset1:81
	ds_write2_b64 v114, v[52:53], v[59:60] offset0:162 offset1:243
	v_add_u32_e32 v52, 0x800, v114
	ds_write2_b64 v52, v[50:51], v[48:49] offset0:68 offset1:149
	v_add_u32_e32 v48, 0xc00, v114
	;; [unrolled: 2-line block ×3, first 2 shown]
	s_waitcnt lgkmcnt(0)
	s_barrier
	ds_read2_b64 v[64:67], v48 offset0:8 offset1:251
	v_add_u32_e32 v48, 0x2880, v99
	ds_read2_b64 v[60:63], v99 offset1:243
	ds_read2_b64 v[68:71], v48 offset1:243
	s_and_saveexec_b64 s[14:15], s[0:1]
	s_cbranch_execz .LBB0_21
; %bb.20:
	ds_read_b64 v[89:90], v99 offset:3888
	ds_read_b64 v[93:94], v99 offset:9072
	;; [unrolled: 1-line block ×3, first 2 shown]
.LBB0_21:
	s_or_b64 exec, exec, s[14:15]
	v_lshlrev_b32_e32 v48, 4, v100
	v_mov_b32_e32 v50, s5
	v_add_co_u32_e32 v48, vcc, s4, v48
	v_addc_co_u32_e32 v49, vcc, 0, v50, vcc
	v_add_co_u32_e32 v48, vcc, 0x1000, v48
	v_addc_co_u32_e32 v49, vcc, 0, v49, vcc
	global_load_dwordx4 v[52:55], v[48:49], off offset:1064
	v_lshlrev_b32_e32 v48, 4, v56
	v_add_co_u32_e32 v48, vcc, s4, v48
	s_movk_i32 s5, 0x1000
	v_addc_co_u32_e32 v49, vcc, 0, v50, vcc
	v_add_co_u32_e32 v48, vcc, s5, v48
	v_addc_co_u32_e32 v49, vcc, 0, v49, vcc
	s_movk_i32 s12, 0xff5e
	global_load_dwordx4 v[56:59], v[48:49], off offset:1064
	v_add_co_u32_e32 v48, vcc, s12, v100
	v_addc_co_u32_e64 v49, s[14:15], 0, -1, vcc
	v_cndmask_b32_e64 v48, v48, v95, s[0:1]
	v_cndmask_b32_e64 v49, v49, v96, s[0:1]
	v_lshlrev_b64 v[48:49], 4, v[48:49]
	v_add_co_u32_e32 v48, vcc, s4, v48
	v_addc_co_u32_e32 v49, vcc, v50, v49, vcc
	v_add_co_u32_e32 v48, vcc, s5, v48
	v_addc_co_u32_e32 v49, vcc, 0, v49, vcc
	global_load_dwordx4 v[48:51], v[48:49], off offset:1064
	s_waitcnt vmcnt(2) lgkmcnt(2)
	v_mul_f32_e32 v95, v65, v53
	v_mul_f32_e32 v96, v64, v53
	s_waitcnt lgkmcnt(0)
	v_mul_f32_e32 v97, v69, v55
	v_mul_f32_e32 v98, v68, v55
	v_fma_f32 v64, v64, v52, -v95
	v_fmac_f32_e32 v96, v65, v52
	v_fma_f32 v65, v68, v54, -v97
	v_fmac_f32_e32 v98, v69, v54
	s_waitcnt vmcnt(1)
	v_mul_f32_e32 v68, v67, v57
	v_mul_f32_e32 v69, v66, v57
	;; [unrolled: 1-line block ×4, first 2 shown]
	v_fma_f32 v115, v66, v56, -v68
	v_fmac_f32_e32 v69, v67, v56
	v_fma_f32 v95, v70, v58, -v95
	v_fmac_f32_e32 v97, v71, v58
	v_add_f32_e32 v67, v64, v65
	v_add_f32_e32 v71, v96, v98
	v_add_f32_e32 v66, v60, v64
	v_add_f32_e32 v68, v61, v96
	v_fma_f32 v60, -0.5, v67, v60
	v_fma_f32 v61, -0.5, v71, v61
	v_add_f32_e32 v71, v115, v95
	v_sub_f32_e32 v70, v96, v98
	v_sub_f32_e32 v96, v64, v65
	v_add_f32_e32 v64, v66, v65
	v_add_f32_e32 v65, v68, v98
	;; [unrolled: 1-line block ×4, first 2 shown]
	v_mov_b32_e32 v66, v60
	v_mov_b32_e32 v67, v61
	v_fma_f32 v62, -0.5, v71, v62
	v_sub_f32_e32 v98, v69, v97
	v_add_f32_e32 v117, v69, v97
	v_fmac_f32_e32 v60, 0xbf5db3d7, v70
	v_fmac_f32_e32 v61, 0x3f5db3d7, v96
	v_add_f32_e32 v69, v116, v97
	v_fmac_f32_e32 v66, 0x3f5db3d7, v70
	v_fmac_f32_e32 v67, 0xbf5db3d7, v96
	v_mov_b32_e32 v70, v62
	s_waitcnt vmcnt(0)
	v_mul_f32_e32 v71, v94, v49
	v_mul_f32_e32 v96, v93, v49
	;; [unrolled: 1-line block ×3, first 2 shown]
	v_fmac_f32_e32 v62, 0xbf5db3d7, v98
	v_fmac_f32_e32 v70, 0x3f5db3d7, v98
	v_mul_f32_e32 v98, v91, v51
	v_fma_f32 v116, v93, v48, -v71
	v_fmac_f32_e32 v96, v94, v48
	v_fma_f32 v94, v91, v50, -v97
	v_fmac_f32_e32 v63, -0.5, v117
	v_fmac_f32_e32 v98, v92, v50
	v_sub_f32_e32 v91, v115, v95
	v_mov_b32_e32 v71, v63
	v_add_f32_e32 v92, v116, v94
	v_fmac_f32_e32 v71, 0xbf5db3d7, v91
	v_fmac_f32_e32 v63, 0x3f5db3d7, v91
	v_add_f32_e32 v91, v89, v116
	v_fmac_f32_e32 v89, -0.5, v92
	v_add_f32_e32 v68, v68, v95
	v_sub_f32_e32 v92, v96, v98
	v_mov_b32_e32 v93, v89
	v_add_f32_e32 v95, v96, v98
	v_fmac_f32_e32 v93, 0x3f5db3d7, v92
	v_fmac_f32_e32 v89, 0xbf5db3d7, v92
	v_add_f32_e32 v92, v90, v96
	v_fmac_f32_e32 v90, -0.5, v95
	v_add_f32_e32 v91, v91, v94
	v_sub_f32_e32 v95, v116, v94
	v_mov_b32_e32 v94, v90
	v_add_f32_e32 v92, v92, v98
	v_fmac_f32_e32 v94, 0xbf5db3d7, v95
	v_fmac_f32_e32 v90, 0x3f5db3d7, v95
	ds_write_b64 v99, v[66:67] offset:5184
	ds_write_b64 v99, v[60:61] offset:10368
	ds_write2_b64 v99, v[64:65], v[68:69] offset1:243
	ds_write_b64 v99, v[70:71] offset:7128
	ds_write_b64 v99, v[62:63] offset:12312
	s_and_saveexec_b64 s[4:5], s[0:1]
	s_cbranch_execz .LBB0_23
; %bb.22:
	ds_write_b64 v99, v[91:92] offset:3888
	ds_write_b64 v99, v[93:94] offset:9072
	;; [unrolled: 1-line block ×3, first 2 shown]
.LBB0_23:
	s_or_b64 exec, exec, s[4:5]
	v_mov_b32_e32 v60, s13
	v_addc_co_u32_e64 v68, vcc, 0, v60, s[2:3]
	v_add_co_u32_e32 v60, vcc, 0x3cc0, v72
	v_addc_co_u32_e32 v61, vcc, 0, v68, vcc
	v_add_co_u32_e32 v62, vcc, 0x3000, v72
	v_addc_co_u32_e32 v63, vcc, 0, v68, vcc
	s_waitcnt lgkmcnt(0)
	s_barrier
	global_load_dwordx2 v[62:63], v[62:63], off offset:3264
	v_add_co_u32_e32 v64, vcc, 0x5000, v72
	v_addc_co_u32_e32 v65, vcc, 0, v68, vcc
	global_load_dwordx2 v[66:67], v[64:65], off offset:256
	global_load_dwordx2 v[69:70], v[64:65], off offset:2200
	global_load_dwordx2 v[123:124], v[60:61], off offset:1944
	v_add_co_u32_e32 v64, vcc, 0x6000, v72
	v_addc_co_u32_e32 v65, vcc, 0, v68, vcc
	global_load_dwordx2 v[125:126], v[64:65], off offset:1344
	global_load_dwordx2 v[127:128], v[64:65], off offset:3288
	ds_read2_b64 v[95:98], v99 offset1:243
	v_add_u32_e32 v64, 0x1400, v99
	v_add_u32_e32 v68, 0x2880, v99
	s_waitcnt vmcnt(5) lgkmcnt(0)
	v_mul_f32_e32 v65, v96, v63
	v_mul_f32_e32 v116, v95, v63
	v_fma_f32 v115, v95, v62, -v65
	v_fmac_f32_e32 v116, v96, v62
	ds_write_b64 v99, v[115:116]
	ds_read2_b64 v[115:118], v64 offset0:8 offset1:251
	ds_read2_b64 v[119:122], v68 offset1:243
	s_waitcnt vmcnt(2)
	v_mul_f32_e32 v62, v98, v124
	v_mul_f32_e32 v63, v97, v124
	v_fma_f32 v62, v97, v123, -v62
	v_fmac_f32_e32 v63, v98, v123
	ds_write_b64 v99, v[62:63] offset:1944
	s_waitcnt lgkmcnt(2)
	v_mul_f32_e32 v62, v116, v67
	v_mul_f32_e32 v63, v115, v67
	;; [unrolled: 1-line block ×4, first 2 shown]
	s_waitcnt vmcnt(1) lgkmcnt(1)
	v_mul_f32_e32 v65, v120, v126
	v_mul_f32_e32 v67, v119, v126
	s_waitcnt vmcnt(0)
	v_mul_f32_e32 v97, v122, v128
	v_mul_f32_e32 v96, v121, v128
	v_fma_f32 v62, v115, v66, -v62
	v_fmac_f32_e32 v63, v116, v66
	v_fma_f32 v70, v117, v69, -v95
	v_fmac_f32_e32 v71, v118, v69
	;; [unrolled: 2-line block ×4, first 2 shown]
	ds_write2_b64 v64, v[62:63], v[70:71] offset0:8 offset1:251
	ds_write2_b64 v68, v[66:67], v[95:96] offset1:243
	s_and_saveexec_b64 s[2:3], s[0:1]
	s_cbranch_execz .LBB0_25
; %bb.24:
	v_add_co_u32_e32 v65, vcc, 0x2000, v60
	v_addc_co_u32_e32 v66, vcc, 0, v61, vcc
	global_load_dwordx2 v[62:63], v[60:61], off offset:3888
	v_add_co_u32_e32 v60, vcc, 0x3000, v60
	global_load_dwordx2 v[65:66], v[65:66], off offset:880
	v_addc_co_u32_e32 v61, vcc, 0, v61, vcc
	global_load_dwordx2 v[60:61], v[60:61], off offset:1968
	ds_read_b64 v[69:70], v99 offset:3888
	ds_read_b64 v[95:96], v99 offset:9072
	;; [unrolled: 1-line block ×3, first 2 shown]
	s_waitcnt vmcnt(2) lgkmcnt(2)
	v_mul_f32_e32 v67, v70, v63
	v_mul_f32_e32 v116, v69, v63
	v_fma_f32 v115, v69, v62, -v67
	v_fmac_f32_e32 v116, v70, v62
	s_waitcnt vmcnt(1) lgkmcnt(1)
	v_mul_f32_e32 v62, v96, v66
	v_mul_f32_e32 v63, v95, v66
	v_fma_f32 v62, v95, v65, -v62
	v_fmac_f32_e32 v63, v96, v65
	;; [unrolled: 5-line block ×3, first 2 shown]
	ds_write_b64 v99, v[115:116] offset:3888
	ds_write_b64 v99, v[62:63] offset:9072
	;; [unrolled: 1-line block ×3, first 2 shown]
.LBB0_25:
	s_or_b64 exec, exec, s[2:3]
	s_waitcnt lgkmcnt(0)
	s_barrier
	ds_read2_b64 v[60:63], v99 offset1:243
	ds_read2_b64 v[64:67], v64 offset0:8 offset1:251
	ds_read2_b64 v[68:71], v68 offset1:243
	s_and_saveexec_b64 s[2:3], s[0:1]
	s_cbranch_execz .LBB0_27
; %bb.26:
	ds_read_b64 v[91:92], v99 offset:3888
	ds_read_b64 v[93:94], v99 offset:9072
	;; [unrolled: 1-line block ×3, first 2 shown]
.LBB0_27:
	s_or_b64 exec, exec, s[2:3]
	s_waitcnt lgkmcnt(1)
	v_add_f32_e32 v95, v60, v64
	s_waitcnt lgkmcnt(0)
	v_add_f32_e32 v115, v95, v68
	v_add_f32_e32 v95, v64, v68
	v_fma_f32 v60, -0.5, v95, v60
	v_sub_f32_e32 v95, v65, v69
	v_mov_b32_e32 v117, v60
	v_fmac_f32_e32 v117, 0xbf5db3d7, v95
	v_fmac_f32_e32 v60, 0x3f5db3d7, v95
	v_add_f32_e32 v95, v61, v65
	v_add_f32_e32 v65, v65, v69
	v_fma_f32 v61, -0.5, v65, v61
	v_sub_f32_e32 v64, v64, v68
	v_mov_b32_e32 v118, v61
	v_add_f32_e32 v65, v66, v70
	v_fmac_f32_e32 v118, 0x3f5db3d7, v64
	v_fmac_f32_e32 v61, 0xbf5db3d7, v64
	v_add_f32_e32 v64, v62, v66
	v_fma_f32 v62, -0.5, v65, v62
	v_sub_f32_e32 v65, v67, v71
	v_mov_b32_e32 v68, v62
	v_fmac_f32_e32 v68, 0xbf5db3d7, v65
	v_fmac_f32_e32 v62, 0x3f5db3d7, v65
	v_add_f32_e32 v65, v63, v67
	v_add_f32_e32 v67, v67, v71
	v_fmac_f32_e32 v63, -0.5, v67
	v_add_f32_e32 v116, v95, v69
	v_sub_f32_e32 v66, v66, v70
	v_mov_b32_e32 v69, v63
	v_fmac_f32_e32 v69, 0x3f5db3d7, v66
	v_fmac_f32_e32 v63, 0xbf5db3d7, v66
	v_add_f32_e32 v66, v93, v91
	v_add_f32_e32 v95, v89, v66
	;; [unrolled: 1-line block ×3, first 2 shown]
	v_fmac_f32_e32 v91, -0.5, v66
	v_sub_f32_e32 v66, v94, v90
	v_mov_b32_e32 v97, v91
	v_fmac_f32_e32 v97, 0xbf5db3d7, v66
	v_fmac_f32_e32 v91, 0x3f5db3d7, v66
	v_add_f32_e32 v66, v94, v92
	v_add_f32_e32 v96, v90, v66
	v_add_f32_e32 v66, v94, v90
	v_fmac_f32_e32 v92, -0.5, v66
	v_sub_f32_e32 v66, v93, v89
	v_mov_b32_e32 v98, v92
	v_fmac_f32_e32 v98, 0x3f5db3d7, v66
	v_fmac_f32_e32 v92, 0xbf5db3d7, v66
	v_add_f32_e32 v64, v64, v70
	v_add_f32_e32 v65, v65, v71
	s_barrier
	ds_write2_b64 v101, v[115:116], v[117:118] offset1:1
	ds_write_b64 v101, v[60:61] offset:16
	ds_write2_b64 v102, v[64:65], v[68:69] offset1:1
	ds_write_b64 v102, v[62:63] offset:16
	s_and_saveexec_b64 s[2:3], s[0:1]
	s_cbranch_execz .LBB0_29
; %bb.28:
	v_lshlrev_b32_e32 v60, 3, v103
	ds_write2_b64 v60, v[95:96], v[97:98] offset1:1
	ds_write_b64 v60, v[91:92] offset:16
.LBB0_29:
	s_or_b64 exec, exec, s[2:3]
	v_add_u32_e32 v64, 0x1400, v99
	s_waitcnt lgkmcnt(0)
	s_barrier
	ds_read2_b64 v[68:71], v64 offset0:8 offset1:251
	v_add_u32_e32 v64, 0x2880, v99
	ds_read2_b64 v[60:63], v99 offset1:243
	ds_read2_b64 v[64:67], v64 offset1:243
	s_and_saveexec_b64 s[2:3], s[0:1]
	s_cbranch_execz .LBB0_31
; %bb.30:
	ds_read_b64 v[95:96], v99 offset:3888
	ds_read_b64 v[97:98], v99 offset:9072
	;; [unrolled: 1-line block ×3, first 2 shown]
.LBB0_31:
	s_or_b64 exec, exec, s[2:3]
	s_waitcnt lgkmcnt(2)
	v_mul_f32_e32 v89, v1, v69
	v_mul_f32_e32 v1, v1, v68
	v_fmac_f32_e32 v89, v0, v68
	v_fma_f32 v68, v0, v69, -v1
	s_waitcnt lgkmcnt(0)
	v_mul_f32_e32 v69, v3, v65
	v_fmac_f32_e32 v69, v2, v64
	v_mul_f32_e32 v0, v3, v64
	v_add_f32_e32 v1, v89, v69
	v_fma_f32 v3, v2, v65, -v0
	v_mul_f32_e32 v64, v5, v71
	v_mul_f32_e32 v0, v5, v70
	v_fma_f32 v2, -0.5, v1, v60
	v_fmac_f32_e32 v64, v4, v70
	v_fma_f32 v65, v4, v71, -v0
	v_sub_f32_e32 v1, v68, v3
	v_mov_b32_e32 v4, v2
	v_fmac_f32_e32 v4, 0xbf5db3d7, v1
	v_fmac_f32_e32 v2, 0x3f5db3d7, v1
	v_add_f32_e32 v1, v61, v68
	v_mul_f32_e32 v70, v7, v67
	v_add_f32_e32 v1, v1, v3
	v_add_f32_e32 v3, v68, v3
	v_fmac_f32_e32 v70, v6, v66
	v_mul_f32_e32 v0, v7, v66
	v_fma_f32 v3, -0.5, v3, v61
	v_fma_f32 v66, v6, v67, -v0
	v_sub_f32_e32 v6, v89, v69
	v_mov_b32_e32 v5, v3
	v_add_f32_e32 v7, v64, v70
	v_mul_f32_e32 v67, v9, v98
	v_mul_f32_e32 v0, v9, v97
	v_fmac_f32_e32 v5, 0x3f5db3d7, v6
	v_fmac_f32_e32 v3, 0xbf5db3d7, v6
	v_add_f32_e32 v6, v62, v64
	v_fma_f32 v62, -0.5, v7, v62
	v_fmac_f32_e32 v67, v8, v97
	v_fma_f32 v71, v8, v98, -v0
	v_sub_f32_e32 v7, v65, v66
	v_mov_b32_e32 v8, v62
	v_add_f32_e32 v9, v65, v66
	v_fmac_f32_e32 v8, 0xbf5db3d7, v7
	v_fmac_f32_e32 v62, 0x3f5db3d7, v7
	v_add_f32_e32 v7, v63, v65
	v_fmac_f32_e32 v63, -0.5, v9
	v_mul_f32_e32 v90, v11, v92
	v_mul_f32_e32 v0, v11, v91
	v_sub_f32_e32 v11, v64, v70
	v_mov_b32_e32 v9, v63
	v_fmac_f32_e32 v90, v10, v91
	v_fmac_f32_e32 v9, 0x3f5db3d7, v11
	;; [unrolled: 1-line block ×3, first 2 shown]
	v_add_f32_e32 v11, v67, v95
	v_fma_f32 v10, v10, v92, -v0
	v_add_f32_e32 v0, v60, v89
	v_add_f32_e32 v60, v11, v90
	;; [unrolled: 1-line block ×3, first 2 shown]
	v_fmac_f32_e32 v95, -0.5, v11
	v_sub_f32_e32 v11, v71, v10
	v_mov_b32_e32 v64, v95
	v_fmac_f32_e32 v64, 0xbf5db3d7, v11
	v_fmac_f32_e32 v95, 0x3f5db3d7, v11
	v_add_f32_e32 v11, v71, v96
	v_add_f32_e32 v61, v10, v11
	;; [unrolled: 1-line block ×3, first 2 shown]
	v_fmac_f32_e32 v96, -0.5, v10
	v_sub_f32_e32 v10, v67, v90
	v_mov_b32_e32 v65, v96
	v_add_f32_e32 v0, v0, v69
	v_fmac_f32_e32 v65, 0x3f5db3d7, v10
	v_fmac_f32_e32 v96, 0xbf5db3d7, v10
	v_add_f32_e32 v6, v6, v70
	v_add_f32_e32 v7, v7, v66
	s_barrier
	ds_write2_b64 v104, v[0:1], v[4:5] offset1:3
	ds_write_b64 v104, v[2:3] offset:48
	ds_write2_b64 v105, v[6:7], v[8:9] offset1:3
	ds_write_b64 v105, v[62:63] offset:48
	s_and_saveexec_b64 s[2:3], s[0:1]
	s_cbranch_execz .LBB0_33
; %bb.32:
	v_lshlrev_b32_e32 v0, 3, v106
	ds_write2_b64 v0, v[60:61], v[64:65] offset1:3
	ds_write_b64 v0, v[95:96] offset:48
.LBB0_33:
	s_or_b64 exec, exec, s[2:3]
	v_add_u32_e32 v4, 0x1400, v99
	s_waitcnt lgkmcnt(0)
	s_barrier
	ds_read2_b64 v[8:11], v4 offset0:8 offset1:251
	v_add_u32_e32 v4, 0x2880, v99
	ds_read2_b64 v[0:3], v99 offset1:243
	ds_read2_b64 v[4:7], v4 offset1:243
	s_and_saveexec_b64 s[2:3], s[0:1]
	s_cbranch_execz .LBB0_35
; %bb.34:
	ds_read_b64 v[60:61], v99 offset:3888
	ds_read_b64 v[64:65], v99 offset:9072
	;; [unrolled: 1-line block ×3, first 2 shown]
.LBB0_35:
	s_or_b64 exec, exec, s[2:3]
	s_waitcnt lgkmcnt(2)
	v_mul_f32_e32 v62, v13, v9
	v_fmac_f32_e32 v62, v12, v8
	v_mul_f32_e32 v8, v13, v8
	v_fma_f32 v8, v12, v9, -v8
	s_waitcnt lgkmcnt(0)
	v_mul_f32_e32 v9, v15, v5
	v_fmac_f32_e32 v9, v14, v4
	v_mul_f32_e32 v4, v15, v4
	v_fma_f32 v12, v14, v5, -v4
	v_mul_f32_e32 v4, v17, v10
	v_mul_f32_e32 v13, v17, v11
	v_fma_f32 v11, v16, v11, -v4
	v_mul_f32_e32 v4, v19, v6
	v_fma_f32 v15, v18, v7, -v4
	;; [unrolled: 2-line block ×3, first 2 shown]
	v_mul_f32_e32 v4, v23, v95
	v_add_f32_e32 v5, v62, v9
	v_mul_f32_e32 v14, v19, v7
	v_fma_f32 v19, v22, v96, -v4
	v_add_f32_e32 v4, v0, v62
	v_fma_f32 v0, -0.5, v5, v0
	v_fmac_f32_e32 v14, v18, v6
	v_sub_f32_e32 v5, v8, v12
	v_mov_b32_e32 v6, v0
	v_add_f32_e32 v7, v8, v12
	v_fmac_f32_e32 v13, v16, v10
	v_fmac_f32_e32 v6, 0xbf5db3d7, v5
	;; [unrolled: 1-line block ×3, first 2 shown]
	v_add_f32_e32 v5, v1, v8
	v_fma_f32 v1, -0.5, v7, v1
	v_add_f32_e32 v4, v4, v9
	v_sub_f32_e32 v8, v62, v9
	v_mov_b32_e32 v7, v1
	v_add_f32_e32 v9, v13, v14
	v_fmac_f32_e32 v7, 0x3f5db3d7, v8
	v_fmac_f32_e32 v1, 0xbf5db3d7, v8
	v_add_f32_e32 v8, v2, v13
	v_fma_f32 v2, -0.5, v9, v2
	v_sub_f32_e32 v9, v11, v15
	v_mov_b32_e32 v10, v2
	v_fmac_f32_e32 v10, 0xbf5db3d7, v9
	v_fmac_f32_e32 v2, 0x3f5db3d7, v9
	v_add_f32_e32 v9, v3, v11
	v_add_f32_e32 v11, v11, v15
	v_mul_f32_e32 v16, v21, v65
	v_fmac_f32_e32 v3, -0.5, v11
	v_fmac_f32_e32 v16, v20, v64
	v_mul_f32_e32 v18, v23, v96
	v_add_f32_e32 v5, v5, v12
	v_sub_f32_e32 v12, v13, v14
	v_mov_b32_e32 v11, v3
	v_fmac_f32_e32 v18, v22, v95
	v_fmac_f32_e32 v11, 0x3f5db3d7, v12
	;; [unrolled: 1-line block ×3, first 2 shown]
	v_add_f32_e32 v12, v16, v60
	v_add_f32_e32 v8, v8, v14
	;; [unrolled: 1-line block ×4, first 2 shown]
	v_fmac_f32_e32 v60, -0.5, v12
	v_sub_f32_e32 v13, v17, v19
	v_mov_b32_e32 v12, v60
	v_fmac_f32_e32 v12, 0xbf5db3d7, v13
	v_fmac_f32_e32 v60, 0x3f5db3d7, v13
	v_add_f32_e32 v13, v17, v61
	v_add_f32_e32 v9, v9, v15
	;; [unrolled: 1-line block ×4, first 2 shown]
	v_fmac_f32_e32 v61, -0.5, v13
	v_sub_f32_e32 v16, v16, v18
	v_mov_b32_e32 v13, v61
	v_fmac_f32_e32 v13, 0x3f5db3d7, v16
	v_fmac_f32_e32 v61, 0xbf5db3d7, v16
	s_barrier
	ds_write2_b64 v109, v[4:5], v[6:7] offset1:9
	ds_write_b64 v109, v[0:1] offset:144
	ds_write2_b64 v110, v[8:9], v[10:11] offset1:9
	ds_write_b64 v110, v[2:3] offset:144
	s_and_saveexec_b64 s[2:3], s[0:1]
	s_cbranch_execz .LBB0_37
; %bb.36:
	v_lshlrev_b32_e32 v0, 3, v111
	ds_write2_b64 v0, v[14:15], v[12:13] offset1:9
	ds_write_b64 v0, v[60:61] offset:144
.LBB0_37:
	s_or_b64 exec, exec, s[2:3]
	v_add_u32_e32 v4, 0x1400, v99
	s_waitcnt lgkmcnt(0)
	s_barrier
	ds_read2_b64 v[8:11], v4 offset0:8 offset1:251
	v_add_u32_e32 v4, 0x2880, v99
	ds_read2_b64 v[0:3], v99 offset1:243
	ds_read2_b64 v[4:7], v4 offset1:243
	s_and_saveexec_b64 s[2:3], s[0:1]
	s_cbranch_execz .LBB0_39
; %bb.38:
	ds_read_b64 v[14:15], v99 offset:3888
	ds_read_b64 v[12:13], v99 offset:9072
	;; [unrolled: 1-line block ×3, first 2 shown]
.LBB0_39:
	s_or_b64 exec, exec, s[2:3]
	s_waitcnt lgkmcnt(2)
	v_mul_f32_e32 v19, v25, v9
	v_fmac_f32_e32 v19, v24, v8
	v_mul_f32_e32 v8, v25, v8
	v_fma_f32 v8, v24, v9, -v8
	s_waitcnt lgkmcnt(0)
	v_mul_f32_e32 v9, v27, v5
	v_fmac_f32_e32 v9, v26, v4
	v_mul_f32_e32 v4, v27, v4
	v_fma_f32 v17, v26, v5, -v4
	v_mul_f32_e32 v4, v29, v10
	v_mul_f32_e32 v23, v29, v11
	v_fma_f32 v24, v28, v11, -v4
	v_add_f32_e32 v11, v19, v9
	v_fma_f32 v16, -0.5, v11, v0
	v_fmac_f32_e32 v23, v28, v10
	v_add_f32_e32 v10, v0, v19
	v_sub_f32_e32 v0, v8, v17
	v_mov_b32_e32 v18, v16
	v_fmac_f32_e32 v18, 0xbf5db3d7, v0
	v_fmac_f32_e32 v16, 0x3f5db3d7, v0
	v_add_f32_e32 v0, v1, v8
	v_add_f32_e32 v11, v0, v17
	;; [unrolled: 1-line block ×3, first 2 shown]
	v_fma_f32 v17, -0.5, v0, v1
	v_mul_f32_e32 v25, v31, v7
	v_sub_f32_e32 v0, v19, v9
	v_mov_b32_e32 v19, v17
	v_fmac_f32_e32 v25, v30, v6
	v_fmac_f32_e32 v19, 0x3f5db3d7, v0
	;; [unrolled: 1-line block ×3, first 2 shown]
	v_add_f32_e32 v0, v2, v23
	v_mul_f32_e32 v4, v31, v6
	v_add_f32_e32 v20, v0, v25
	v_add_f32_e32 v0, v23, v25
	v_fma_f32 v26, v30, v7, -v4
	v_fma_f32 v2, -0.5, v0, v2
	v_sub_f32_e32 v0, v24, v26
	v_mov_b32_e32 v22, v2
	v_fmac_f32_e32 v22, 0xbf5db3d7, v0
	v_fmac_f32_e32 v2, 0x3f5db3d7, v0
	v_add_f32_e32 v0, v3, v24
	v_mul_f32_e32 v5, v33, v12
	v_add_f32_e32 v21, v0, v26
	v_add_f32_e32 v0, v24, v26
	v_mul_f32_e32 v4, v33, v13
	v_fma_f32 v6, v32, v13, -v5
	v_mul_f32_e32 v5, v35, v61
	v_mul_f32_e32 v7, v35, v60
	v_fmac_f32_e32 v3, -0.5, v0
	v_fmac_f32_e32 v4, v32, v12
	v_fmac_f32_e32 v5, v34, v60
	v_fma_f32 v7, v34, v61, -v7
	v_sub_f32_e32 v0, v23, v25
	v_mov_b32_e32 v23, v3
	v_fmac_f32_e32 v23, 0x3f5db3d7, v0
	v_fmac_f32_e32 v3, 0xbf5db3d7, v0
	v_add_f32_e32 v0, v4, v5
	v_add_f32_e32 v1, v6, v7
	v_fma_f32 v0, -0.5, v0, v14
	v_fma_f32 v1, -0.5, v1, v15
	v_add_f32_e32 v10, v10, v9
	v_sub_f32_e32 v8, v6, v7
	v_mov_b32_e32 v12, v0
	v_sub_f32_e32 v9, v4, v5
	v_mov_b32_e32 v13, v1
	v_fmac_f32_e32 v12, 0x3f5db3d7, v8
	v_fmac_f32_e32 v13, 0xbf5db3d7, v9
	s_barrier
	ds_write2_b64 v112, v[10:11], v[18:19] offset1:27
	ds_write_b64 v112, v[16:17] offset:432
	ds_write2_b64 v113, v[20:21], v[22:23] offset1:27
	ds_write_b64 v113, v[2:3] offset:432
	s_and_saveexec_b64 s[2:3], s[0:1]
	s_cbranch_execz .LBB0_41
; %bb.40:
	v_add_f32_e32 v2, v6, v15
	s_movk_i32 s4, 0x51
	v_mul_f32_e32 v8, 0x3f5db3d7, v8
	v_mul_f32_e32 v9, 0x3f5db3d7, v9
	v_add_f32_e32 v3, v7, v2
	v_add_f32_e32 v2, v4, v14
	v_mad_legacy_u16 v4, v107, s4, v108
	v_add_f32_e32 v2, v2, v5
	v_add_f32_e32 v1, v9, v1
	v_sub_f32_e32 v0, v0, v8
	v_lshlrev_b32_e32 v4, 3, v4
	ds_write2_b64 v4, v[2:3], v[0:1] offset1:27
	ds_write_b64 v4, v[12:13] offset:432
.LBB0_41:
	s_or_b64 exec, exec, s[2:3]
	s_waitcnt lgkmcnt(0)
	s_barrier
	ds_read2_b64 v[0:3], v99 offset1:243
	v_add_u32_e32 v4, 0xf00, v99
	ds_read2_b64 v[4:7], v4 offset0:6 offset1:249
	v_add_u32_e32 v8, 0x1e00, v99
	ds_read2_b64 v[8:11], v8 offset0:12 offset1:255
	s_waitcnt lgkmcnt(2)
	v_mul_f32_e32 v18, v45, v3
	v_fmac_f32_e32 v18, v44, v2
	v_mul_f32_e32 v2, v45, v2
	v_fma_f32 v2, v44, v3, -v2
	s_waitcnt lgkmcnt(1)
	v_mul_f32_e32 v3, v47, v5
	v_fmac_f32_e32 v3, v46, v4
	v_mul_f32_e32 v4, v47, v4
	v_add_u32_e32 v14, 0x2d80, v99
	v_fma_f32 v4, v46, v5, -v4
	v_mul_f32_e32 v5, v41, v7
	ds_read2_b64 v[14:17], v14 offset0:2 offset1:245
	v_fmac_f32_e32 v5, v40, v6
	v_mul_f32_e32 v6, v41, v6
	v_fma_f32 v6, v40, v7, -v6
	s_waitcnt lgkmcnt(1)
	v_mul_f32_e32 v7, v43, v9
	v_fmac_f32_e32 v7, v42, v8
	v_mul_f32_e32 v8, v43, v8
	v_fma_f32 v8, v42, v9, -v8
	v_mul_f32_e32 v9, v37, v11
	v_fmac_f32_e32 v9, v36, v10
	v_mul_f32_e32 v10, v37, v10
	v_fma_f32 v10, v36, v11, -v10
	s_waitcnt lgkmcnt(0)
	v_mul_f32_e32 v11, v39, v15
	v_fmac_f32_e32 v11, v38, v14
	v_mul_f32_e32 v14, v39, v14
	v_fma_f32 v14, v38, v15, -v14
	v_mul_f32_e32 v15, v88, v17
	v_fmac_f32_e32 v15, v87, v16
	v_mul_f32_e32 v16, v88, v16
	v_fma_f32 v16, v87, v17, -v16
	v_sub_f32_e32 v7, v0, v7
	v_sub_f32_e32 v8, v1, v8
	v_sub_f32_e32 v11, v3, v11
	v_sub_f32_e32 v14, v4, v14
	v_sub_f32_e32 v9, v18, v9
	v_sub_f32_e32 v10, v2, v10
	v_sub_f32_e32 v15, v5, v15
	v_sub_f32_e32 v16, v6, v16
	v_fma_f32 v0, v0, 2.0, -v7
	v_fma_f32 v1, v1, 2.0, -v8
	v_fma_f32 v3, v3, 2.0, -v11
	v_fma_f32 v4, v4, 2.0, -v14
	v_fma_f32 v17, v18, 2.0, -v9
	v_fma_f32 v2, v2, 2.0, -v10
	v_fma_f32 v5, v5, 2.0, -v15
	v_fma_f32 v6, v6, 2.0, -v16
	v_sub_f32_e32 v18, v0, v3
	v_sub_f32_e32 v19, v1, v4
	v_add_f32_e32 v20, v7, v14
	v_sub_f32_e32 v21, v17, v5
	v_sub_f32_e32 v14, v2, v6
	v_fma_f32 v3, v0, 2.0, -v18
	v_fma_f32 v4, v1, 2.0, -v19
	v_sub_f32_e32 v11, v8, v11
	v_fma_f32 v0, v17, 2.0, -v21
	v_fma_f32 v1, v2, 2.0, -v14
	;; [unrolled: 1-line block ×4, first 2 shown]
	v_add_f32_e32 v22, v9, v16
	v_sub_f32_e32 v23, v10, v15
	v_sub_f32_e32 v0, v3, v0
	;; [unrolled: 1-line block ×3, first 2 shown]
	v_fma_f32 v6, v9, 2.0, -v22
	v_fma_f32 v9, v10, 2.0, -v23
	;; [unrolled: 1-line block ×4, first 2 shown]
	v_mov_b32_e32 v4, v7
	v_mov_b32_e32 v5, v8
	v_fmac_f32_e32 v4, 0xbf3504f3, v6
	v_fmac_f32_e32 v5, 0xbf3504f3, v9
	v_mov_b32_e32 v16, v20
	v_mov_b32_e32 v17, v11
	v_fmac_f32_e32 v4, 0x3f3504f3, v9
	v_fmac_f32_e32 v5, 0xbf3504f3, v6
	;; [unrolled: 1-line block ×4, first 2 shown]
	v_fma_f32 v6, v7, 2.0, -v4
	v_fma_f32 v7, v8, 2.0, -v5
	v_add_f32_e32 v14, v18, v14
	v_sub_f32_e32 v15, v19, v21
	v_fmac_f32_e32 v16, 0x3f3504f3, v23
	v_fmac_f32_e32 v17, 0xbf3504f3, v22
	v_fma_f32 v8, v18, 2.0, -v14
	v_fma_f32 v9, v19, 2.0, -v15
	;; [unrolled: 1-line block ×4, first 2 shown]
	s_barrier
	ds_write2_b64 v114, v[2:3], v[6:7] offset1:81
	ds_write2_b64 v114, v[8:9], v[10:11] offset0:162 offset1:243
	v_add_u32_e32 v2, 0x800, v114
	ds_write2_b64 v2, v[0:1], v[4:5] offset0:68 offset1:149
	v_add_u32_e32 v0, 0xc00, v114
	v_add_u32_e32 v4, 0x1400, v99
	ds_write2_b64 v0, v[14:15], v[16:17] offset0:102 offset1:183
	s_waitcnt lgkmcnt(0)
	s_barrier
	ds_read2_b64 v[8:11], v4 offset0:8 offset1:251
	v_add_u32_e32 v4, 0x2880, v99
	ds_read2_b64 v[0:3], v99 offset1:243
	ds_read2_b64 v[4:7], v4 offset1:243
	s_and_saveexec_b64 s[2:3], s[0:1]
	s_cbranch_execz .LBB0_43
; %bb.42:
	ds_read_b64 v[14:15], v99 offset:3888
	ds_read_b64 v[16:17], v99 offset:9072
	ds_read_b64 v[12:13], v99 offset:14256
.LBB0_43:
	s_or_b64 exec, exec, s[2:3]
	s_waitcnt lgkmcnt(2)
	v_mul_f32_e32 v18, v53, v9
	v_fmac_f32_e32 v18, v52, v8
	v_mul_f32_e32 v8, v53, v8
	v_fma_f32 v8, v52, v9, -v8
	s_waitcnt lgkmcnt(0)
	v_mul_f32_e32 v9, v55, v5
	v_fmac_f32_e32 v9, v54, v4
	v_mul_f32_e32 v4, v55, v4
	v_fma_f32 v19, v54, v5, -v4
	v_mul_f32_e32 v4, v57, v10
	v_mul_f32_e32 v20, v57, v11
	v_fma_f32 v11, v56, v11, -v4
	v_mul_f32_e32 v4, v59, v6
	v_add_f32_e32 v5, v18, v9
	v_mul_f32_e32 v21, v59, v7
	v_fma_f32 v22, v58, v7, -v4
	v_add_f32_e32 v4, v0, v18
	v_fma_f32 v0, -0.5, v5, v0
	v_fmac_f32_e32 v21, v58, v6
	v_sub_f32_e32 v5, v8, v19
	v_mov_b32_e32 v6, v0
	v_add_f32_e32 v7, v8, v19
	v_fmac_f32_e32 v20, v56, v10
	v_fmac_f32_e32 v6, 0xbf5db3d7, v5
	;; [unrolled: 1-line block ×3, first 2 shown]
	v_add_f32_e32 v5, v1, v8
	v_fma_f32 v1, -0.5, v7, v1
	v_add_f32_e32 v4, v4, v9
	v_sub_f32_e32 v8, v18, v9
	v_mov_b32_e32 v7, v1
	v_add_f32_e32 v9, v20, v21
	v_fmac_f32_e32 v7, 0x3f5db3d7, v8
	v_fmac_f32_e32 v1, 0xbf5db3d7, v8
	v_add_f32_e32 v8, v2, v20
	v_fma_f32 v2, -0.5, v9, v2
	v_sub_f32_e32 v9, v11, v22
	v_mov_b32_e32 v10, v2
	v_fmac_f32_e32 v10, 0xbf5db3d7, v9
	v_fmac_f32_e32 v2, 0x3f5db3d7, v9
	v_add_f32_e32 v9, v3, v11
	v_add_f32_e32 v11, v11, v22
	v_fmac_f32_e32 v3, -0.5, v11
	v_sub_f32_e32 v18, v20, v21
	v_mov_b32_e32 v11, v3
	v_add_f32_e32 v5, v5, v19
	v_add_f32_e32 v8, v8, v21
	;; [unrolled: 1-line block ×3, first 2 shown]
	v_fmac_f32_e32 v11, 0x3f5db3d7, v18
	v_fmac_f32_e32 v3, 0xbf5db3d7, v18
	ds_write_b64 v99, v[6:7] offset:5184
	ds_write_b64 v99, v[0:1] offset:10368
	ds_write2_b64 v99, v[4:5], v[8:9] offset1:243
	ds_write_b64 v99, v[10:11] offset:7128
	ds_write_b64 v99, v[2:3] offset:12312
	s_and_saveexec_b64 s[2:3], s[0:1]
	s_cbranch_execz .LBB0_45
; %bb.44:
	v_mul_f32_e32 v0, v51, v12
	v_fma_f32 v2, v50, v13, -v0
	v_mul_f32_e32 v0, v49, v16
	v_fma_f32 v4, v48, v17, -v0
	v_mul_f32_e32 v5, v49, v17
	v_mul_f32_e32 v6, v51, v13
	v_add_f32_e32 v0, v4, v15
	v_fmac_f32_e32 v5, v48, v16
	v_fmac_f32_e32 v6, v50, v12
	v_add_f32_e32 v1, v2, v0
	v_add_f32_e32 v0, v5, v14
	;; [unrolled: 1-line block ×3, first 2 shown]
	v_sub_f32_e32 v7, v5, v6
	v_add_f32_e32 v5, v5, v6
	v_fmac_f32_e32 v15, -0.5, v3
	v_fmac_f32_e32 v14, -0.5, v5
	v_add_f32_e32 v0, v0, v6
	v_mov_b32_e32 v3, v15
	v_sub_f32_e32 v4, v4, v2
	v_mov_b32_e32 v2, v14
	v_fmac_f32_e32 v3, 0xbf5db3d7, v7
	v_fmac_f32_e32 v15, 0x3f5db3d7, v7
	;; [unrolled: 1-line block ×4, first 2 shown]
	ds_write_b64 v99, v[0:1] offset:3888
	ds_write_b64 v99, v[14:15] offset:9072
	;; [unrolled: 1-line block ×3, first 2 shown]
.LBB0_45:
	s_or_b64 exec, exec, s[2:3]
	s_waitcnt lgkmcnt(0)
	s_barrier
	ds_read2_b64 v[0:3], v99 offset1:243
	v_mad_u64_u32 v[8:9], s[2:3], s10, v74, 0
	s_mov_b32 s2, 0xa88f4696
	s_mov_b32 s3, 0x3f40db20
	s_waitcnt lgkmcnt(0)
	v_mul_f32_e32 v4, v86, v1
	v_fmac_f32_e32 v4, v85, v0
	v_cvt_f64_f32_e32 v[4:5], v4
	v_mul_f32_e32 v0, v86, v0
	v_fma_f32 v0, v85, v1, -v0
	v_cvt_f64_f32_e32 v[0:1], v0
	v_mul_f64 v[4:5], v[4:5], s[2:3]
	v_mad_u64_u32 v[10:11], s[4:5], s8, v100, 0
	v_mov_b32_e32 v6, v9
	v_mad_u64_u32 v[6:7], s[4:5], s11, v74, v[6:7]
	v_mul_f64 v[0:1], v[0:1], s[2:3]
	v_cvt_f32_f64_e32 v12, v[4:5]
	v_mov_b32_e32 v4, v11
	v_mad_u64_u32 v[14:15], s[4:5], s9, v100, v[4:5]
	v_add_u32_e32 v4, 0x1400, v99
	v_mov_b32_e32 v9, v6
	ds_read2_b64 v[4:7], v4 offset0:8 offset1:251
	v_cvt_f32_f64_e32 v13, v[0:1]
	v_lshlrev_b64 v[0:1], 3, v[8:9]
	v_mov_b32_e32 v11, v14
	v_mov_b32_e32 v14, s7
	s_waitcnt lgkmcnt(0)
	v_mul_f32_e32 v8, v84, v5
	v_fmac_f32_e32 v8, v83, v4
	v_mul_f32_e32 v4, v84, v4
	v_fma_f32 v4, v83, v5, -v4
	v_cvt_f64_f32_e32 v[8:9], v8
	v_cvt_f64_f32_e32 v[4:5], v4
	v_add_co_u32_e32 v15, vcc, s6, v0
	v_addc_co_u32_e32 v16, vcc, v14, v1, vcc
	v_mul_f64 v[0:1], v[8:9], s[2:3]
	v_mul_f64 v[4:5], v[4:5], s[2:3]
	v_lshlrev_b64 v[8:9], 3, v[10:11]
	s_mul_i32 s4, s9, 0x288
	v_add_co_u32_e32 v14, vcc, v15, v8
	v_addc_co_u32_e32 v15, vcc, v16, v9, vcc
	v_cvt_f32_f64_e32 v0, v[0:1]
	v_cvt_f32_f64_e32 v1, v[4:5]
	v_add_u32_e32 v4, 0x2880, v99
	ds_read2_b64 v[8:11], v4 offset1:243
	s_mul_hi_u32 s5, s8, 0x288
	s_add_i32 s5, s5, s4
	s_mul_i32 s4, s8, 0x288
	s_lshl_b64 s[4:5], s[4:5], 3
	s_waitcnt lgkmcnt(0)
	v_mul_f32_e32 v4, v80, v9
	v_fmac_f32_e32 v4, v79, v8
	v_mul_f32_e32 v8, v80, v8
	v_fma_f32 v8, v79, v9, -v8
	v_cvt_f64_f32_e32 v[4:5], v4
	v_cvt_f64_f32_e32 v[8:9], v8
	global_store_dwordx2 v[14:15], v[12:13], off
	v_add_co_u32_e32 v12, vcc, s4, v14
	v_mul_f32_e32 v14, v82, v3
	v_fmac_f32_e32 v14, v81, v2
	v_mul_f32_e32 v2, v82, v2
	v_fma_f32 v2, v81, v3, -v2
	v_mul_f64 v[4:5], v[4:5], s[2:3]
	v_mul_f64 v[8:9], v[8:9], s[2:3]
	v_cvt_f64_f32_e32 v[2:3], v2
	v_mov_b32_e32 v16, s5
	v_addc_co_u32_e32 v13, vcc, v15, v16, vcc
	v_mul_f64 v[2:3], v[2:3], s[2:3]
	v_cvt_f64_f32_e32 v[14:15], v14
	global_store_dwordx2 v[12:13], v[0:1], off
	v_cvt_f32_f64_e32 v0, v[4:5]
	v_cvt_f32_f64_e32 v1, v[8:9]
	v_mul_f64 v[4:5], v[14:15], s[2:3]
	v_add_co_u32_e32 v8, vcc, s4, v12
	v_addc_co_u32_e32 v9, vcc, v13, v16, vcc
	global_store_dwordx2 v[8:9], v[0:1], off
	v_cvt_f32_f64_e32 v1, v[2:3]
	v_mul_f32_e32 v2, v76, v7
	v_fmac_f32_e32 v2, v75, v6
	v_cvt_f64_f32_e32 v[2:3], v2
	s_mul_hi_u32 s7, s8, 0xfffffbe3
	s_mul_i32 s6, s9, 0xfffffbe3
	s_sub_i32 s7, s7, s8
	s_add_i32 s7, s7, s6
	s_mul_i32 s6, s8, 0xfffffbe3
	v_cvt_f32_f64_e32 v0, v[4:5]
	s_lshl_b64 s[6:7], s[6:7], 3
	v_mul_f32_e32 v4, v76, v6
	v_mul_f64 v[2:3], v[2:3], s[2:3]
	v_fma_f32 v4, v75, v7, -v4
	v_add_co_u32_e32 v6, vcc, s6, v8
	v_mul_f32_e32 v8, v78, v11
	v_cvt_f64_f32_e32 v[4:5], v4
	v_fmac_f32_e32 v8, v77, v10
	v_mul_f32_e32 v10, v78, v10
	v_mov_b32_e32 v12, s7
	v_fma_f32 v10, v77, v11, -v10
	v_addc_co_u32_e32 v7, vcc, v9, v12, vcc
	v_cvt_f64_f32_e32 v[8:9], v8
	v_cvt_f64_f32_e32 v[10:11], v10
	v_mul_f64 v[4:5], v[4:5], s[2:3]
	global_store_dwordx2 v[6:7], v[0:1], off
	v_cvt_f32_f64_e32 v0, v[2:3]
	v_mul_f64 v[2:3], v[8:9], s[2:3]
	v_mul_f64 v[8:9], v[10:11], s[2:3]
	v_cvt_f32_f64_e32 v1, v[4:5]
	v_add_co_u32_e32 v4, vcc, s4, v6
	v_cvt_f32_f64_e32 v2, v[2:3]
	v_cvt_f32_f64_e32 v3, v[8:9]
	v_addc_co_u32_e32 v5, vcc, v7, v16, vcc
	global_store_dwordx2 v[4:5], v[0:1], off
	v_add_co_u32_e32 v0, vcc, s4, v4
	v_addc_co_u32_e32 v1, vcc, v5, v16, vcc
	global_store_dwordx2 v[0:1], v[2:3], off
	s_and_b64 exec, exec, s[0:1]
	s_cbranch_execz .LBB0_47
; %bb.46:
	s_movk_i32 s0, 0x2000
	v_add_co_u32_e32 v4, vcc, s0, v72
	global_load_dwordx2 v[2:3], v[72:73], off offset:3888
	v_addc_co_u32_e32 v5, vcc, 0, v73, vcc
	s_movk_i32 s0, 0x3000
	v_add_co_u32_e32 v6, vcc, s0, v72
	global_load_dwordx2 v[4:5], v[4:5], off offset:880
	v_addc_co_u32_e32 v7, vcc, 0, v73, vcc
	global_load_dwordx2 v[6:7], v[6:7], off offset:1968
	ds_read_b64 v[8:9], v99 offset:3888
	ds_read_b64 v[10:11], v99 offset:9072
	;; [unrolled: 1-line block ×3, first 2 shown]
	v_mov_b32_e32 v14, s7
	v_add_co_u32_e32 v0, vcc, s6, v0
	v_addc_co_u32_e32 v1, vcc, v1, v14, vcc
	v_mov_b32_e32 v16, s5
	s_waitcnt vmcnt(2) lgkmcnt(2)
	v_mul_f32_e32 v14, v9, v3
	v_mul_f32_e32 v3, v8, v3
	v_fmac_f32_e32 v14, v8, v2
	v_fma_f32 v8, v2, v9, -v3
	v_cvt_f64_f32_e32 v[2:3], v14
	v_cvt_f64_f32_e32 v[8:9], v8
	s_waitcnt vmcnt(1) lgkmcnt(1)
	v_mul_f32_e32 v14, v11, v5
	v_mul_f32_e32 v5, v10, v5
	v_fmac_f32_e32 v14, v10, v4
	s_waitcnt vmcnt(0) lgkmcnt(0)
	v_mul_f32_e32 v15, v13, v7
	v_mul_f32_e32 v7, v12, v7
	v_fma_f32 v10, v4, v11, -v5
	v_fmac_f32_e32 v15, v12, v6
	v_fma_f32 v12, v6, v13, -v7
	v_cvt_f64_f32_e32 v[4:5], v14
	v_cvt_f64_f32_e32 v[6:7], v10
	v_cvt_f64_f32_e32 v[10:11], v15
	v_cvt_f64_f32_e32 v[12:13], v12
	v_mul_f64 v[2:3], v[2:3], s[2:3]
	v_mul_f64 v[8:9], v[8:9], s[2:3]
	;; [unrolled: 1-line block ×6, first 2 shown]
	v_add_co_u32_e32 v14, vcc, s4, v0
	v_cvt_f32_f64_e32 v2, v[2:3]
	v_cvt_f32_f64_e32 v3, v[8:9]
	;; [unrolled: 1-line block ×4, first 2 shown]
	v_addc_co_u32_e32 v15, vcc, v1, v16, vcc
	v_cvt_f32_f64_e32 v6, v[10:11]
	v_cvt_f32_f64_e32 v7, v[12:13]
	v_add_co_u32_e32 v8, vcc, s4, v14
	v_addc_co_u32_e32 v9, vcc, v15, v16, vcc
	global_store_dwordx2 v[0:1], v[2:3], off
	global_store_dwordx2 v[14:15], v[4:5], off
	;; [unrolled: 1-line block ×3, first 2 shown]
.LBB0_47:
	s_endpgm
	.section	.rodata,"a",@progbits
	.p2align	6, 0x0
	.amdhsa_kernel bluestein_single_back_len1944_dim1_sp_op_CI_CI
		.amdhsa_group_segment_fixed_size 15552
		.amdhsa_private_segment_fixed_size 0
		.amdhsa_kernarg_size 104
		.amdhsa_user_sgpr_count 6
		.amdhsa_user_sgpr_private_segment_buffer 1
		.amdhsa_user_sgpr_dispatch_ptr 0
		.amdhsa_user_sgpr_queue_ptr 0
		.amdhsa_user_sgpr_kernarg_segment_ptr 1
		.amdhsa_user_sgpr_dispatch_id 0
		.amdhsa_user_sgpr_flat_scratch_init 0
		.amdhsa_user_sgpr_private_segment_size 0
		.amdhsa_uses_dynamic_stack 0
		.amdhsa_system_sgpr_private_segment_wavefront_offset 0
		.amdhsa_system_sgpr_workgroup_id_x 1
		.amdhsa_system_sgpr_workgroup_id_y 0
		.amdhsa_system_sgpr_workgroup_id_z 0
		.amdhsa_system_sgpr_workgroup_info 0
		.amdhsa_system_vgpr_workitem_id 0
		.amdhsa_next_free_vgpr 129
		.amdhsa_next_free_sgpr 20
		.amdhsa_reserve_vcc 1
		.amdhsa_reserve_flat_scratch 0
		.amdhsa_float_round_mode_32 0
		.amdhsa_float_round_mode_16_64 0
		.amdhsa_float_denorm_mode_32 3
		.amdhsa_float_denorm_mode_16_64 3
		.amdhsa_dx10_clamp 1
		.amdhsa_ieee_mode 1
		.amdhsa_fp16_overflow 0
		.amdhsa_exception_fp_ieee_invalid_op 0
		.amdhsa_exception_fp_denorm_src 0
		.amdhsa_exception_fp_ieee_div_zero 0
		.amdhsa_exception_fp_ieee_overflow 0
		.amdhsa_exception_fp_ieee_underflow 0
		.amdhsa_exception_fp_ieee_inexact 0
		.amdhsa_exception_int_div_zero 0
	.end_amdhsa_kernel
	.text
.Lfunc_end0:
	.size	bluestein_single_back_len1944_dim1_sp_op_CI_CI, .Lfunc_end0-bluestein_single_back_len1944_dim1_sp_op_CI_CI
                                        ; -- End function
	.section	.AMDGPU.csdata,"",@progbits
; Kernel info:
; codeLenInByte = 9492
; NumSgprs: 24
; NumVgprs: 129
; ScratchSize: 0
; MemoryBound: 0
; FloatMode: 240
; IeeeMode: 1
; LDSByteSize: 15552 bytes/workgroup (compile time only)
; SGPRBlocks: 2
; VGPRBlocks: 32
; NumSGPRsForWavesPerEU: 24
; NumVGPRsForWavesPerEU: 129
; Occupancy: 1
; WaveLimiterHint : 1
; COMPUTE_PGM_RSRC2:SCRATCH_EN: 0
; COMPUTE_PGM_RSRC2:USER_SGPR: 6
; COMPUTE_PGM_RSRC2:TRAP_HANDLER: 0
; COMPUTE_PGM_RSRC2:TGID_X_EN: 1
; COMPUTE_PGM_RSRC2:TGID_Y_EN: 0
; COMPUTE_PGM_RSRC2:TGID_Z_EN: 0
; COMPUTE_PGM_RSRC2:TIDIG_COMP_CNT: 0
	.type	__hip_cuid_bd1ac4cc459ad003,@object ; @__hip_cuid_bd1ac4cc459ad003
	.section	.bss,"aw",@nobits
	.globl	__hip_cuid_bd1ac4cc459ad003
__hip_cuid_bd1ac4cc459ad003:
	.byte	0                               ; 0x0
	.size	__hip_cuid_bd1ac4cc459ad003, 1

	.ident	"AMD clang version 19.0.0git (https://github.com/RadeonOpenCompute/llvm-project roc-6.4.0 25133 c7fe45cf4b819c5991fe208aaa96edf142730f1d)"
	.section	".note.GNU-stack","",@progbits
	.addrsig
	.addrsig_sym __hip_cuid_bd1ac4cc459ad003
	.amdgpu_metadata
---
amdhsa.kernels:
  - .args:
      - .actual_access:  read_only
        .address_space:  global
        .offset:         0
        .size:           8
        .value_kind:     global_buffer
      - .actual_access:  read_only
        .address_space:  global
        .offset:         8
        .size:           8
        .value_kind:     global_buffer
      - .actual_access:  read_only
        .address_space:  global
        .offset:         16
        .size:           8
        .value_kind:     global_buffer
      - .actual_access:  read_only
        .address_space:  global
        .offset:         24
        .size:           8
        .value_kind:     global_buffer
      - .actual_access:  read_only
        .address_space:  global
        .offset:         32
        .size:           8
        .value_kind:     global_buffer
      - .offset:         40
        .size:           8
        .value_kind:     by_value
      - .address_space:  global
        .offset:         48
        .size:           8
        .value_kind:     global_buffer
      - .address_space:  global
        .offset:         56
        .size:           8
        .value_kind:     global_buffer
      - .address_space:  global
        .offset:         64
        .size:           8
        .value_kind:     global_buffer
      - .address_space:  global
        .offset:         72
        .size:           8
        .value_kind:     global_buffer
      - .offset:         80
        .size:           4
        .value_kind:     by_value
      - .address_space:  global
        .offset:         88
        .size:           8
        .value_kind:     global_buffer
      - .address_space:  global
        .offset:         96
        .size:           8
        .value_kind:     global_buffer
    .group_segment_fixed_size: 15552
    .kernarg_segment_align: 8
    .kernarg_segment_size: 104
    .language:       OpenCL C
    .language_version:
      - 2
      - 0
    .max_flat_workgroup_size: 243
    .name:           bluestein_single_back_len1944_dim1_sp_op_CI_CI
    .private_segment_fixed_size: 0
    .sgpr_count:     24
    .sgpr_spill_count: 0
    .symbol:         bluestein_single_back_len1944_dim1_sp_op_CI_CI.kd
    .uniform_work_group_size: 1
    .uses_dynamic_stack: false
    .vgpr_count:     129
    .vgpr_spill_count: 0
    .wavefront_size: 64
amdhsa.target:   amdgcn-amd-amdhsa--gfx906
amdhsa.version:
  - 1
  - 2
...

	.end_amdgpu_metadata
